;; amdgpu-corpus repo=ROCm/rocFFT kind=compiled arch=gfx1030 opt=O3
	.text
	.amdgcn_target "amdgcn-amd-amdhsa--gfx1030"
	.amdhsa_code_object_version 6
	.protected	bluestein_single_back_len578_dim1_dp_op_CI_CI ; -- Begin function bluestein_single_back_len578_dim1_dp_op_CI_CI
	.globl	bluestein_single_back_len578_dim1_dp_op_CI_CI
	.p2align	8
	.type	bluestein_single_back_len578_dim1_dp_op_CI_CI,@function
bluestein_single_back_len578_dim1_dp_op_CI_CI: ; @bluestein_single_back_len578_dim1_dp_op_CI_CI
; %bb.0:
	s_load_dwordx4 s[12:15], s[4:5], 0x28
	v_mul_u32_u24_e32 v1, 0x788, v0
	s_mov_b64 s[66:67], s[2:3]
	s_mov_b64 s[64:65], s[0:1]
	s_add_u32 s64, s64, s7
	v_lshrrev_b32_e32 v1, 16, v1
	s_addc_u32 s65, s65, 0
	v_mad_u64_u32 v[220:221], null, s6, 7, v[1:2]
	v_mov_b32_e32 v221, 0
                                        ; kill: def $vgpr2 killed $sgpr0 killed $exec
	s_mov_b32 s0, exec_lo
	s_waitcnt lgkmcnt(0)
	v_cmpx_gt_u64_e64 s[12:13], v[220:221]
	s_cbranch_execz .LBB0_10
; %bb.1:
	v_mul_lo_u16 v1, v1, 34
	s_clause 0x2
	s_load_dwordx4 s[8:11], s[4:5], 0x0
	s_load_dwordx4 s[0:3], s[4:5], 0x18
	s_load_dwordx2 s[12:13], s[4:5], 0x38
	s_mov_b32 s46, 0x5d8e7cdc
	s_mov_b32 s52, 0x2a9d6da3
	;; [unrolled: 1-line block ×3, first 2 shown]
	v_sub_nc_u16 v211, v0, v1
	v_mul_hi_u32 v0, 0x24924925, v220
	s_mov_b32 s48, 0xeb564b22
	s_mov_b32 s16, 0x923c349f
	;; [unrolled: 1-line block ×3, first 2 shown]
	v_and_b32_e32 v44, 0xffff, v211
	s_mov_b32 s34, 0x4363dd80
	s_mov_b32 s44, 0xacd6c6b4
	;; [unrolled: 1-line block ×3, first 2 shown]
	v_sub_nc_u32_e32 v1, v220, v0
	v_lshlrev_b32_e32 v20, 4, v44
	s_mov_b32 s53, 0xbfe58eea
	s_mov_b32 s57, 0xbfeca52d
	;; [unrolled: 1-line block ×3, first 2 shown]
	v_lshrrev_b32_e32 v1, 1, v1
	s_waitcnt lgkmcnt(0)
	s_load_dwordx4 s[4:7], s[2:3], 0x0
	s_load_dwordx4 s[0:3], s[0:1], 0x0
                                        ; kill: def $vgpr2 killed $sgpr0 killed $exec
                                        ; kill: def $vgpr4 killed $sgpr0 killed $exec
	global_load_dwordx4 v[12:15], v20, s[8:9]
	s_mov_b32 s17, 0xbfeec746
	v_add_nc_u32_e32 v0, v1, v0
	s_mov_b32 s27, 0xbfe9895b
	s_mov_b32 s35, 0xbfe0d888
	;; [unrolled: 1-line block ×4, first 2 shown]
	v_lshrrev_b32_e32 v0, 2, v0
	s_mov_b32 s28, 0x75d4884
	s_mov_b32 s18, 0x2b2883cd
	;; [unrolled: 1-line block ×4, first 2 shown]
	v_mul_lo_u32 v0, v0, 7
	s_mov_b32 s42, 0x7faef3
	s_mov_b32 s39, 0x3fedd6d0
	;; [unrolled: 1-line block ×7, first 2 shown]
	v_sub_nc_u32_e32 v0, v220, v0
	s_mov_b32 s59, 0x3fe0d888
	s_mov_b32 s58, s34
	s_mov_b32 s55, 0x3feec746
	s_mov_b32 s54, s16
	v_mul_u32_u24_e32 v8, 0x242, v0
	s_waitcnt lgkmcnt(0)
	v_mad_u64_u32 v[0:1], null, s2, v220, 0
	s_mov_b32 s25, 0x3feca52d
	s_mov_b32 s24, s56
	v_lshlrev_b32_e32 v254, 4, v8
	s_mov_b32 s41, 0x3fd71e95
	s_mov_b32 s40, s46
	;; [unrolled: 1-line block ×3, first 2 shown]
	v_mad_u64_u32 v[1:2], null, s3, v220, v[1:2]
	v_mad_u64_u32 v[2:3], null, s0, v44, 0
	v_add_nc_u32_e32 v255, v20, v254
	s_mov_b32 s60, s44
	s_mov_b32 s37, 0x3fe58eea
	;; [unrolled: 1-line block ×3, first 2 shown]
	v_lshlrev_b64 v[0:1], 4, v[0:1]
	s_mov_b32 s51, 0x3fe9895b
	v_mad_u64_u32 v[3:4], null, s1, v44, v[3:4]
	s_mulk_i32 s1, 0x220
	s_mov_b32 s50, s26
	v_add_co_u32 v4, vcc_lo, s14, v0
	v_add_co_ci_u32_e32 v5, vcc_lo, s15, v1, vcc_lo
	v_lshlrev_b64 v[0:1], 4, v[2:3]
	s_mov_b32 s14, 0xc61f0d01
	s_mov_b32 s15, 0xbfd183b1
	;; [unrolled: 1-line block ×4, first 2 shown]
	v_add_co_u32 v10, vcc_lo, v4, v0
	v_add_co_ci_u32_e32 v11, vcc_lo, v5, v1, vcc_lo
	v_add_co_u32 v0, s2, s8, v20
	v_add_co_ci_u32_e64 v1, null, s9, 0, s2
	global_load_dwordx4 v[2:5], v[10:11], off
	s_mul_hi_u32 s2, s0, 0x220
	s_mulk_i32 s0, 0x220
	s_add_i32 s1, s2, s1
	v_add_co_u32 v212, s2, 0x110, v44
	v_add_co_ci_u32_e64 v213, null, 0, 0, s2
	s_mov_b32 s2, 0x3259b75e
	s_mov_b32 s3, 0x3fb79ee6
	s_waitcnt vmcnt(0)
	v_mul_f64 v[6:7], v[4:5], v[14:15]
	v_fma_f64 v[6:7], v[2:3], v[12:13], v[6:7]
	v_mul_f64 v[2:3], v[2:3], v[14:15]
	buffer_store_dword v12, off, s[64:67], 0 offset:4 ; 4-byte Folded Spill
	buffer_store_dword v13, off, s[64:67], 0 offset:8 ; 4-byte Folded Spill
	;; [unrolled: 1-line block ×4, first 2 shown]
	v_fma_f64 v[8:9], v[4:5], v[12:13], -v[2:3]
	v_add_co_u32 v2, vcc_lo, v10, s0
	v_add_co_ci_u32_e32 v3, vcc_lo, s1, v11, vcc_lo
	ds_write_b128 v255, v[6:9]
	global_load_dwordx4 v[8:11], v[2:3], off
	global_load_dwordx4 v[4:7], v20, s[8:9] offset:544
	v_add_co_u32 v2, vcc_lo, v2, s0
	v_add_co_ci_u32_e32 v3, vcc_lo, s1, v3, vcc_lo
	s_waitcnt vmcnt(0)
	v_mul_f64 v[12:13], v[10:11], v[6:7]
	v_fma_f64 v[12:13], v[8:9], v[4:5], v[12:13]
	v_mul_f64 v[8:9], v[8:9], v[6:7]
	buffer_store_dword v4, off, s[64:67], 0 offset:20 ; 4-byte Folded Spill
	buffer_store_dword v5, off, s[64:67], 0 offset:24 ; 4-byte Folded Spill
	;; [unrolled: 1-line block ×4, first 2 shown]
	v_fma_f64 v[14:15], v[10:11], v[4:5], -v[8:9]
	ds_write_b128 v255, v[12:15] offset:544
	global_load_dwordx4 v[12:15], v[2:3], off
	global_load_dwordx4 v[4:7], v20, s[8:9] offset:1088
	v_add_co_u32 v2, vcc_lo, v2, s0
	v_add_co_ci_u32_e32 v3, vcc_lo, s1, v3, vcc_lo
	s_waitcnt vmcnt(0)
	v_mul_f64 v[16:17], v[14:15], v[6:7]
	v_fma_f64 v[16:17], v[12:13], v[4:5], v[16:17]
	v_mul_f64 v[12:13], v[12:13], v[6:7]
	buffer_store_dword v4, off, s[64:67], 0 offset:36 ; 4-byte Folded Spill
	buffer_store_dword v5, off, s[64:67], 0 offset:40 ; 4-byte Folded Spill
	;; [unrolled: 1-line block ×4, first 2 shown]
	v_fma_f64 v[18:19], v[14:15], v[4:5], -v[12:13]
	ds_write_b128 v255, v[16:19] offset:1088
	global_load_dwordx4 v[16:19], v[2:3], off
	global_load_dwordx4 v[4:7], v20, s[8:9] offset:1632
	v_add_co_u32 v2, vcc_lo, v2, s0
	v_add_co_ci_u32_e32 v3, vcc_lo, s1, v3, vcc_lo
	v_add_co_u32 v36, vcc_lo, 0x800, v0
	v_add_co_ci_u32_e32 v37, vcc_lo, 0, v1, vcc_lo
	s_waitcnt vmcnt(0)
	v_mul_f64 v[20:21], v[18:19], v[6:7]
	v_fma_f64 v[20:21], v[16:17], v[4:5], v[20:21]
	v_mul_f64 v[16:17], v[16:17], v[6:7]
	buffer_store_dword v4, off, s[64:67], 0 offset:52 ; 4-byte Folded Spill
	buffer_store_dword v5, off, s[64:67], 0 offset:56 ; 4-byte Folded Spill
	;; [unrolled: 1-line block ×4, first 2 shown]
	v_fma_f64 v[22:23], v[18:19], v[4:5], -v[16:17]
	global_load_dwordx4 v[4:7], v[36:37], off offset:128
	ds_write_b128 v255, v[20:23] offset:1632
	global_load_dwordx4 v[20:23], v[2:3], off
	v_add_co_u32 v2, vcc_lo, v2, s0
	v_add_co_ci_u32_e32 v3, vcc_lo, s1, v3, vcc_lo
	s_waitcnt vmcnt(0)
	v_mul_f64 v[24:25], v[22:23], v[6:7]
	v_fma_f64 v[24:25], v[20:21], v[4:5], v[24:25]
	v_mul_f64 v[20:21], v[20:21], v[6:7]
	buffer_store_dword v4, off, s[64:67], 0 offset:68 ; 4-byte Folded Spill
	buffer_store_dword v5, off, s[64:67], 0 offset:72 ; 4-byte Folded Spill
	buffer_store_dword v6, off, s[64:67], 0 offset:76 ; 4-byte Folded Spill
	buffer_store_dword v7, off, s[64:67], 0 offset:80 ; 4-byte Folded Spill
	v_fma_f64 v[26:27], v[22:23], v[4:5], -v[20:21]
	ds_write_b128 v255, v[24:27] offset:2176
	global_load_dwordx4 v[24:27], v[2:3], off
	global_load_dwordx4 v[4:7], v[36:37], off offset:672
	v_add_co_u32 v2, vcc_lo, v2, s0
	v_add_co_ci_u32_e32 v3, vcc_lo, s1, v3, vcc_lo
	s_waitcnt vmcnt(0)
	v_mul_f64 v[28:29], v[26:27], v[6:7]
	v_fma_f64 v[28:29], v[24:25], v[4:5], v[28:29]
	v_mul_f64 v[24:25], v[24:25], v[6:7]
	buffer_store_dword v4, off, s[64:67], 0 offset:84 ; 4-byte Folded Spill
	buffer_store_dword v5, off, s[64:67], 0 offset:88 ; 4-byte Folded Spill
	buffer_store_dword v6, off, s[64:67], 0 offset:92 ; 4-byte Folded Spill
	buffer_store_dword v7, off, s[64:67], 0 offset:96 ; 4-byte Folded Spill
	v_fma_f64 v[30:31], v[26:27], v[4:5], -v[24:25]
	ds_write_b128 v255, v[28:31] offset:2720
	global_load_dwordx4 v[24:27], v[2:3], off
	global_load_dwordx4 v[4:7], v[36:37], off offset:1216
	;; [unrolled: 14-line block ×3, first 2 shown]
	v_add_co_u32 v2, vcc_lo, v2, s0
	v_add_co_ci_u32_e32 v3, vcc_lo, s1, v3, vcc_lo
	v_add_co_u32 v52, vcc_lo, 0x1000, v0
	v_add_co_ci_u32_e32 v53, vcc_lo, 0, v1, vcc_lo
	s_waitcnt vmcnt(0)
	v_mul_f64 v[36:37], v[26:27], v[6:7]
	v_fma_f64 v[36:37], v[24:25], v[4:5], v[36:37]
	v_mul_f64 v[24:25], v[24:25], v[6:7]
	buffer_store_dword v4, off, s[64:67], 0 offset:132 ; 4-byte Folded Spill
	buffer_store_dword v5, off, s[64:67], 0 offset:136 ; 4-byte Folded Spill
	;; [unrolled: 1-line block ×4, first 2 shown]
	v_fma_f64 v[38:39], v[26:27], v[4:5], -v[24:25]
	global_load_dwordx4 v[24:27], v[2:3], off
	global_load_dwordx4 v[4:7], v[52:53], off offset:256
	v_add_co_u32 v2, vcc_lo, v2, s0
	v_add_co_ci_u32_e32 v3, vcc_lo, s1, v3, vcc_lo
	ds_write_b128 v255, v[36:39] offset:3808
	s_waitcnt vmcnt(0)
	v_mul_f64 v[36:37], v[26:27], v[6:7]
	v_fma_f64 v[36:37], v[24:25], v[4:5], v[36:37]
	v_mul_f64 v[24:25], v[24:25], v[6:7]
	buffer_store_dword v4, off, s[64:67], 0 offset:180 ; 4-byte Folded Spill
	buffer_store_dword v5, off, s[64:67], 0 offset:184 ; 4-byte Folded Spill
	buffer_store_dword v6, off, s[64:67], 0 offset:188 ; 4-byte Folded Spill
	buffer_store_dword v7, off, s[64:67], 0 offset:192 ; 4-byte Folded Spill
	v_fma_f64 v[38:39], v[26:27], v[4:5], -v[24:25]
	ds_write_b128 v255, v[36:39] offset:4352
	global_load_dwordx4 v[36:39], v[2:3], off
	global_load_dwordx4 v[4:7], v[52:53], off offset:800
	v_add_co_u32 v2, vcc_lo, v2, s0
	v_add_co_ci_u32_e32 v3, vcc_lo, s1, v3, vcc_lo
	s_waitcnt vmcnt(0)
	v_mul_f64 v[40:41], v[38:39], v[6:7]
	v_fma_f64 v[40:41], v[36:37], v[4:5], v[40:41]
	v_mul_f64 v[36:37], v[36:37], v[6:7]
	buffer_store_dword v4, off, s[64:67], 0 offset:100 ; 4-byte Folded Spill
	buffer_store_dword v5, off, s[64:67], 0 offset:104 ; 4-byte Folded Spill
	buffer_store_dword v6, off, s[64:67], 0 offset:108 ; 4-byte Folded Spill
	buffer_store_dword v7, off, s[64:67], 0 offset:112 ; 4-byte Folded Spill
	v_fma_f64 v[42:43], v[38:39], v[4:5], -v[36:37]
	ds_write_b128 v255, v[40:43] offset:4896
	global_load_dwordx4 v[36:39], v[2:3], off
	global_load_dwordx4 v[4:7], v[52:53], off offset:1344
	v_add_co_u32 v2, vcc_lo, v2, s0
	v_add_co_ci_u32_e32 v3, vcc_lo, s1, v3, vcc_lo
	;; [unrolled: 14-line block ×3, first 2 shown]
	v_add_co_u32 v68, vcc_lo, 0x1800, v0
	v_add_co_ci_u32_e32 v69, vcc_lo, 0, v1, vcc_lo
	s_waitcnt vmcnt(0)
	v_mul_f64 v[52:53], v[50:51], v[6:7]
	v_fma_f64 v[52:53], v[48:49], v[4:5], v[52:53]
	v_mul_f64 v[48:49], v[48:49], v[6:7]
	buffer_store_dword v4, off, s[64:67], 0 offset:148 ; 4-byte Folded Spill
	buffer_store_dword v5, off, s[64:67], 0 offset:152 ; 4-byte Folded Spill
	;; [unrolled: 1-line block ×4, first 2 shown]
	v_fma_f64 v[54:55], v[50:51], v[4:5], -v[48:49]
	global_load_dwordx4 v[4:7], v[68:69], off offset:384
	ds_write_b128 v255, v[52:55] offset:5984
	global_load_dwordx4 v[52:55], v[2:3], off
	v_add_co_u32 v2, vcc_lo, v2, s0
	v_add_co_ci_u32_e32 v3, vcc_lo, s1, v3, vcc_lo
	s_waitcnt vmcnt(0)
	v_mul_f64 v[56:57], v[54:55], v[6:7]
	v_fma_f64 v[56:57], v[52:53], v[4:5], v[56:57]
	v_mul_f64 v[52:53], v[52:53], v[6:7]
	buffer_store_dword v4, off, s[64:67], 0 offset:196 ; 4-byte Folded Spill
	buffer_store_dword v5, off, s[64:67], 0 offset:200 ; 4-byte Folded Spill
	;; [unrolled: 1-line block ×4, first 2 shown]
	v_fma_f64 v[58:59], v[54:55], v[4:5], -v[52:53]
	ds_write_b128 v255, v[56:59] offset:6528
	global_load_dwordx4 v[56:59], v[2:3], off
	global_load_dwordx4 v[4:7], v[68:69], off offset:928
	v_add_co_u32 v2, vcc_lo, v2, s0
	v_add_co_ci_u32_e32 v3, vcc_lo, s1, v3, vcc_lo
	s_waitcnt vmcnt(0)
	v_mul_f64 v[60:61], v[58:59], v[6:7]
	v_fma_f64 v[60:61], v[56:57], v[4:5], v[60:61]
	v_mul_f64 v[56:57], v[56:57], v[6:7]
	buffer_store_dword v4, off, s[64:67], 0 offset:212 ; 4-byte Folded Spill
	buffer_store_dword v5, off, s[64:67], 0 offset:216 ; 4-byte Folded Spill
	;; [unrolled: 1-line block ×4, first 2 shown]
	v_fma_f64 v[62:63], v[58:59], v[4:5], -v[56:57]
	v_mul_lo_u16 v4, v211, 17
	v_and_b32_e32 v4, 0xffff, v4
	v_lshl_add_u32 v243, v4, 4, v254
	ds_write_b128 v255, v[60:63] offset:7072
	global_load_dwordx4 v[60:63], v[2:3], off
	global_load_dwordx4 v[56:59], v[68:69], off offset:1472
	v_add_co_u32 v2, vcc_lo, v2, s0
	v_add_co_ci_u32_e32 v3, vcc_lo, s1, v3, vcc_lo
	s_waitcnt vmcnt(0)
	v_mul_f64 v[64:65], v[62:63], v[58:59]
	v_fma_f64 v[64:65], v[60:61], v[56:57], v[64:65]
	v_mul_f64 v[60:61], v[60:61], v[58:59]
	v_fma_f64 v[66:67], v[62:63], v[56:57], -v[60:61]
	ds_write_b128 v255, v[64:67] offset:7616
	global_load_dwordx4 v[64:67], v[2:3], off
	global_load_dwordx4 v[60:63], v[68:69], off offset:2016
	v_add_co_u32 v2, vcc_lo, v2, s0
	v_add_co_ci_u32_e32 v3, vcc_lo, s1, v3, vcc_lo
	v_add_co_u32 v0, vcc_lo, 0x2000, v0
	v_add_co_ci_u32_e32 v1, vcc_lo, 0, v1, vcc_lo
	v_add_co_u32 v214, s0, 0xffffffef, v44
	v_add_co_ci_u32_e64 v215, null, 0, -1, s0
	v_cmp_gt_u16_e32 vcc_lo, 17, v211
	s_waitcnt vmcnt(0)
	v_mul_f64 v[68:69], v[66:67], v[62:63]
	v_fma_f64 v[68:69], v[64:65], v[60:61], v[68:69]
	v_mul_f64 v[64:65], v[64:65], v[62:63]
	v_fma_f64 v[70:71], v[66:67], v[60:61], -v[64:65]
	global_load_dwordx4 v[64:67], v[0:1], off offset:512
	ds_write_b128 v255, v[68:71] offset:8160
	global_load_dwordx4 v[68:71], v[2:3], off
	s_waitcnt vmcnt(0)
	v_mul_f64 v[0:1], v[70:71], v[66:67]
	v_mul_f64 v[2:3], v[68:69], v[66:67]
	v_fma_f64 v[0:1], v[68:69], v[64:65], v[0:1]
	v_fma_f64 v[2:3], v[70:71], v[64:65], -v[2:3]
	ds_write_b128 v255, v[0:3] offset:8704
	s_waitcnt lgkmcnt(0)
	s_waitcnt_vscnt null, 0x0
	s_barrier
	buffer_gl0_inv
	ds_read_b128 v[0:3], v255
	ds_read_b128 v[112:115], v255 offset:544
	ds_read_b128 v[116:119], v255 offset:1088
	;; [unrolled: 1-line block ×16, first 2 shown]
	s_waitcnt lgkmcnt(0)
	s_barrier
	buffer_gl0_inv
	v_add_f64 v[68:69], v[0:1], v[112:113]
	v_add_f64 v[70:71], v[2:3], v[114:115]
	;; [unrolled: 1-line block ×3, first 2 shown]
	v_add_f64 v[114:115], v[114:115], -v[134:135]
	v_add_f64 v[136:137], v[112:113], v[132:133]
	v_add_f64 v[112:113], v[112:113], -v[132:133]
	v_add_f64 v[68:69], v[68:69], v[116:117]
	v_add_f64 v[70:71], v[70:71], v[118:119]
	v_mul_f64 v[144:145], v[114:115], s[52:53]
	v_mul_f64 v[152:153], v[114:115], s[56:57]
	v_mul_f64 v[160:161], v[114:115], s[48:49]
	v_mul_f64 v[168:169], v[114:115], s[16:17]
	v_mul_f64 v[176:177], v[114:115], s[26:27]
	v_mul_f64 v[184:185], v[114:115], s[34:35]
	v_add_f64 v[68:69], v[68:69], v[120:121]
	v_add_f64 v[70:71], v[70:71], v[122:123]
	v_mul_f64 v[140:141], v[112:113], s[46:47]
	v_mul_f64 v[148:149], v[112:113], s[52:53]
	;; [unrolled: 1-line block ×8, first 2 shown]
	v_fma_f64 v[146:147], v[136:137], s[28:29], -v[144:145]
	v_fma_f64 v[144:145], v[136:137], s[28:29], v[144:145]
	v_fma_f64 v[154:155], v[136:137], s[18:19], -v[152:153]
	v_fma_f64 v[152:153], v[136:137], s[18:19], v[152:153]
	;; [unrolled: 2-line block ×3, first 2 shown]
	v_add_f64 v[68:69], v[68:69], v[104:105]
	v_add_f64 v[70:71], v[70:71], v[106:107]
	v_fma_f64 v[170:171], v[136:137], s[14:15], -v[168:169]
	v_fma_f64 v[168:169], v[136:137], s[14:15], v[168:169]
	v_fma_f64 v[178:179], v[136:137], s[22:23], -v[176:177]
	v_fma_f64 v[176:177], v[136:137], s[22:23], v[176:177]
	;; [unrolled: 2-line block ×3, first 2 shown]
	v_fma_f64 v[142:143], v[138:139], s[38:39], v[140:141]
	v_fma_f64 v[140:141], v[138:139], s[38:39], -v[140:141]
	v_fma_f64 v[150:151], v[138:139], s[28:29], v[148:149]
	v_fma_f64 v[148:149], v[138:139], s[28:29], -v[148:149]
	;; [unrolled: 2-line block ×4, first 2 shown]
	v_add_f64 v[146:147], v[0:1], v[146:147]
	v_add_f64 v[144:145], v[0:1], v[144:145]
	;; [unrolled: 1-line block ×9, first 2 shown]
	v_fma_f64 v[174:175], v[138:139], s[14:15], v[172:173]
	v_add_f64 v[168:169], v[0:1], v[168:169]
	v_fma_f64 v[172:173], v[138:139], s[14:15], -v[172:173]
	v_add_f64 v[178:179], v[0:1], v[178:179]
	v_fma_f64 v[182:183], v[138:139], s[22:23], v[180:181]
	v_add_f64 v[176:177], v[0:1], v[176:177]
	v_fma_f64 v[180:181], v[138:139], s[22:23], -v[180:181]
	v_add_f64 v[186:187], v[0:1], v[186:187]
	v_fma_f64 v[190:191], v[138:139], s[30:31], v[188:189]
	v_add_f64 v[184:185], v[0:1], v[184:185]
	v_fma_f64 v[188:189], v[138:139], s[30:31], -v[188:189]
	v_fma_f64 v[194:195], v[138:139], s[42:43], v[112:113]
	v_fma_f64 v[112:113], v[138:139], s[42:43], -v[112:113]
	v_add_f64 v[142:143], v[2:3], v[142:143]
	v_add_f64 v[140:141], v[2:3], v[140:141]
	v_add_f64 v[150:151], v[2:3], v[150:151]
	v_add_f64 v[148:149], v[2:3], v[148:149]
	v_add_f64 v[158:159], v[2:3], v[158:159]
	v_add_f64 v[156:157], v[2:3], v[156:157]
	v_add_f64 v[68:69], v[68:69], v[88:89]
	v_add_f64 v[70:71], v[70:71], v[90:91]
	v_add_f64 v[166:167], v[2:3], v[166:167]
	v_add_f64 v[164:165], v[2:3], v[164:165]
	v_add_f64 v[174:175], v[2:3], v[174:175]
	v_add_f64 v[172:173], v[2:3], v[172:173]
	v_add_f64 v[182:183], v[2:3], v[182:183]
	v_add_f64 v[180:181], v[2:3], v[180:181]
	v_add_f64 v[190:191], v[2:3], v[190:191]
	v_add_f64 v[188:189], v[2:3], v[188:189]
	v_add_f64 v[194:195], v[2:3], v[194:195]
	v_add_f64 v[2:3], v[2:3], v[112:113]
	v_add_f64 v[112:113], v[116:117], v[128:129]
	v_add_f64 v[116:117], v[116:117], -v[128:129]
	v_add_f64 v[68:69], v[68:69], v[80:81]
	v_add_f64 v[70:71], v[70:71], v[82:83]
	;; [unrolled: 1-line block ×19, first 2 shown]
	v_mul_f64 v[132:133], v[114:115], s[46:47]
	v_mul_f64 v[114:115], v[114:115], s[44:45]
	v_add_f64 v[70:71], v[70:71], v[134:135]
	v_fma_f64 v[134:135], v[136:137], s[38:39], -v[132:133]
	v_fma_f64 v[132:133], v[136:137], s[38:39], v[132:133]
	v_fma_f64 v[192:193], v[136:137], s[42:43], -v[114:115]
	v_fma_f64 v[114:115], v[136:137], s[42:43], v[114:115]
	v_add_f64 v[134:135], v[0:1], v[134:135]
	v_add_f64 v[132:133], v[0:1], v[132:133]
	v_add_f64 v[192:193], v[0:1], v[192:193]
	v_add_f64 v[0:1], v[0:1], v[114:115]
	v_add_f64 v[114:115], v[118:119], v[130:131]
	v_add_f64 v[118:119], v[118:119], -v[130:131]
	v_mul_f64 v[128:129], v[118:119], s[52:53]
	v_fma_f64 v[130:131], v[112:113], s[28:29], -v[128:129]
	v_fma_f64 v[128:129], v[112:113], s[28:29], v[128:129]
	v_add_f64 v[130:131], v[130:131], v[134:135]
	v_mul_f64 v[134:135], v[116:117], s[52:53]
	v_add_f64 v[128:129], v[128:129], v[132:133]
	v_fma_f64 v[136:137], v[114:115], s[28:29], v[134:135]
	v_fma_f64 v[132:133], v[114:115], s[28:29], -v[134:135]
	v_mul_f64 v[134:135], v[118:119], s[48:49]
	v_add_f64 v[136:137], v[136:137], v[142:143]
	v_add_f64 v[132:133], v[132:133], v[140:141]
	v_fma_f64 v[138:139], v[112:113], s[2:3], -v[134:135]
	v_fma_f64 v[134:135], v[112:113], s[2:3], v[134:135]
	v_mul_f64 v[140:141], v[116:117], s[48:49]
	v_add_f64 v[138:139], v[138:139], v[146:147]
	v_add_f64 v[134:135], v[134:135], v[144:145]
	v_mul_f64 v[144:145], v[118:119], s[26:27]
	v_fma_f64 v[142:143], v[114:115], s[2:3], v[140:141]
	v_fma_f64 v[140:141], v[114:115], s[2:3], -v[140:141]
	v_fma_f64 v[146:147], v[112:113], s[22:23], -v[144:145]
	v_fma_f64 v[144:145], v[112:113], s[22:23], v[144:145]
	v_add_f64 v[140:141], v[140:141], v[148:149]
	v_mul_f64 v[148:149], v[116:117], s[26:27]
	v_add_f64 v[142:143], v[142:143], v[150:151]
	v_add_f64 v[146:147], v[146:147], v[154:155]
	v_add_f64 v[144:145], v[144:145], v[152:153]
	v_mul_f64 v[152:153], v[118:119], s[44:45]
	v_fma_f64 v[150:151], v[114:115], s[22:23], v[148:149]
	v_fma_f64 v[148:149], v[114:115], s[22:23], -v[148:149]
	v_fma_f64 v[154:155], v[112:113], s[42:43], -v[152:153]
	v_fma_f64 v[152:153], v[112:113], s[42:43], v[152:153]
	v_add_f64 v[148:149], v[148:149], v[156:157]
	v_mul_f64 v[156:157], v[116:117], s[44:45]
	v_add_f64 v[150:151], v[150:151], v[158:159]
	;; [unrolled: 10-line block ×4, first 2 shown]
	v_add_f64 v[170:171], v[170:171], v[178:179]
	v_add_f64 v[168:169], v[168:169], v[176:177]
	v_mul_f64 v[176:177], v[118:119], s[24:25]
	v_fma_f64 v[174:175], v[114:115], s[14:15], v[172:173]
	v_fma_f64 v[172:173], v[114:115], s[14:15], -v[172:173]
	v_mul_f64 v[118:119], v[118:119], s[40:41]
	v_fma_f64 v[178:179], v[112:113], s[18:19], -v[176:177]
	v_fma_f64 v[176:177], v[112:113], s[18:19], v[176:177]
	v_add_f64 v[172:173], v[172:173], v[180:181]
	v_mul_f64 v[180:181], v[116:117], s[24:25]
	v_mul_f64 v[116:117], v[116:117], s[40:41]
	v_add_f64 v[174:175], v[174:175], v[182:183]
	v_add_f64 v[178:179], v[178:179], v[186:187]
	;; [unrolled: 1-line block ×3, first 2 shown]
	v_fma_f64 v[184:185], v[112:113], s[38:39], -v[118:119]
	v_fma_f64 v[112:113], v[112:113], s[38:39], v[118:119]
	v_add_f64 v[118:119], v[122:123], -v[126:127]
	v_fma_f64 v[186:187], v[114:115], s[38:39], v[116:117]
	v_fma_f64 v[182:183], v[114:115], s[18:19], v[180:181]
	v_fma_f64 v[180:181], v[114:115], s[18:19], -v[180:181]
	v_add_f64 v[184:185], v[184:185], v[192:193]
	v_add_f64 v[0:1], v[112:113], v[0:1]
	v_fma_f64 v[112:113], v[114:115], s[38:39], -v[116:117]
	v_add_f64 v[116:117], v[120:121], -v[124:125]
	v_add_f64 v[114:115], v[122:123], v[126:127]
	v_add_f64 v[180:181], v[180:181], v[188:189]
	;; [unrolled: 1-line block ×6, first 2 shown]
	v_mul_f64 v[120:121], v[118:119], s[56:57]
	v_mul_f64 v[124:125], v[116:117], s[56:57]
	v_fma_f64 v[122:123], v[112:113], s[18:19], -v[120:121]
	v_fma_f64 v[120:121], v[112:113], s[18:19], v[120:121]
	v_fma_f64 v[126:127], v[114:115], s[18:19], v[124:125]
	v_fma_f64 v[124:125], v[114:115], s[18:19], -v[124:125]
	v_add_f64 v[122:123], v[122:123], v[130:131]
	v_add_f64 v[120:121], v[120:121], v[128:129]
	v_mul_f64 v[128:129], v[118:119], s[26:27]
	v_add_f64 v[124:125], v[124:125], v[132:133]
	v_mul_f64 v[132:133], v[116:117], s[26:27]
	v_add_f64 v[126:127], v[126:127], v[136:137]
	v_fma_f64 v[130:131], v[112:113], s[22:23], -v[128:129]
	v_fma_f64 v[128:129], v[112:113], s[22:23], v[128:129]
	v_fma_f64 v[136:137], v[114:115], s[22:23], v[132:133]
	v_fma_f64 v[132:133], v[114:115], s[22:23], -v[132:133]
	v_add_f64 v[130:131], v[130:131], v[138:139]
	v_add_f64 v[128:129], v[128:129], v[134:135]
	v_mul_f64 v[134:135], v[118:119], s[60:61]
	v_add_f64 v[132:133], v[132:133], v[140:141]
	v_mul_f64 v[140:141], v[116:117], s[60:61]
	v_add_f64 v[136:137], v[136:137], v[142:143]
	;; [unrolled: 10-line block ×5, first 2 shown]
	v_fma_f64 v[162:163], v[112:113], s[38:39], -v[160:161]
	v_fma_f64 v[160:161], v[112:113], s[38:39], v[160:161]
	v_fma_f64 v[166:167], v[114:115], s[38:39], v[164:165]
	v_fma_f64 v[164:165], v[114:115], s[38:39], -v[164:165]
	v_add_f64 v[162:163], v[162:163], v[170:171]
	v_add_f64 v[160:161], v[160:161], v[168:169]
	v_mul_f64 v[168:169], v[118:119], s[48:49]
	v_mul_f64 v[118:119], v[118:119], s[34:35]
	v_add_f64 v[164:165], v[164:165], v[172:173]
	v_mul_f64 v[172:173], v[116:117], s[48:49]
	v_mul_f64 v[116:117], v[116:117], s[34:35]
	v_add_f64 v[166:167], v[166:167], v[174:175]
	v_fma_f64 v[170:171], v[112:113], s[2:3], -v[168:169]
	v_fma_f64 v[168:169], v[112:113], s[2:3], v[168:169]
	v_fma_f64 v[174:175], v[114:115], s[2:3], v[172:173]
	v_fma_f64 v[172:173], v[114:115], s[2:3], -v[172:173]
	v_add_f64 v[170:171], v[170:171], v[178:179]
	v_add_f64 v[168:169], v[168:169], v[176:177]
	v_fma_f64 v[176:177], v[112:113], s[30:31], -v[118:119]
	v_fma_f64 v[112:113], v[112:113], s[30:31], v[118:119]
	v_fma_f64 v[178:179], v[114:115], s[30:31], v[116:117]
	v_add_f64 v[172:173], v[172:173], v[180:181]
	v_add_f64 v[174:175], v[174:175], v[182:183]
	v_add_f64 v[176:177], v[176:177], v[184:185]
	v_add_f64 v[0:1], v[112:113], v[0:1]
	v_fma_f64 v[112:113], v[114:115], s[30:31], -v[116:117]
	v_add_f64 v[114:115], v[106:107], v[110:111]
	v_add_f64 v[106:107], v[106:107], -v[110:111]
	v_add_f64 v[178:179], v[178:179], v[186:187]
	v_add_f64 v[2:3], v[112:113], v[2:3]
	;; [unrolled: 1-line block ×3, first 2 shown]
	v_add_f64 v[104:105], v[104:105], -v[108:109]
	v_mul_f64 v[108:109], v[106:107], s[48:49]
	v_mul_f64 v[116:117], v[104:105], s[48:49]
	v_fma_f64 v[110:111], v[112:113], s[2:3], -v[108:109]
	v_fma_f64 v[108:109], v[112:113], s[2:3], v[108:109]
	v_fma_f64 v[118:119], v[114:115], s[2:3], v[116:117]
	v_add_f64 v[110:111], v[110:111], v[122:123]
	v_add_f64 v[108:109], v[108:109], v[120:121]
	v_mul_f64 v[120:121], v[106:107], s[44:45]
	v_fma_f64 v[116:117], v[114:115], s[2:3], -v[116:117]
	v_add_f64 v[118:119], v[118:119], v[126:127]
	v_fma_f64 v[122:123], v[112:113], s[42:43], -v[120:121]
	v_fma_f64 v[120:121], v[112:113], s[42:43], v[120:121]
	v_add_f64 v[116:117], v[116:117], v[124:125]
	v_mul_f64 v[124:125], v[104:105], s[44:45]
	v_add_f64 v[122:123], v[122:123], v[130:131]
	v_add_f64 v[120:121], v[120:121], v[128:129]
	v_mul_f64 v[128:129], v[106:107], s[54:55]
	v_fma_f64 v[126:127], v[114:115], s[42:43], v[124:125]
	v_fma_f64 v[124:125], v[114:115], s[42:43], -v[124:125]
	v_fma_f64 v[130:131], v[112:113], s[14:15], -v[128:129]
	v_fma_f64 v[128:129], v[112:113], s[14:15], v[128:129]
	v_add_f64 v[124:125], v[124:125], v[132:133]
	v_mul_f64 v[132:133], v[104:105], s[54:55]
	v_add_f64 v[126:127], v[126:127], v[136:137]
	v_add_f64 v[130:131], v[130:131], v[138:139]
	v_add_f64 v[128:129], v[128:129], v[134:135]
	v_mul_f64 v[134:135], v[106:107], s[40:41]
	v_fma_f64 v[136:137], v[114:115], s[14:15], v[132:133]
	v_fma_f64 v[132:133], v[114:115], s[14:15], -v[132:133]
	v_fma_f64 v[138:139], v[112:113], s[38:39], -v[134:135]
	v_fma_f64 v[134:135], v[112:113], s[38:39], v[134:135]
	v_add_f64 v[132:133], v[132:133], v[140:141]
	v_mul_f64 v[140:141], v[104:105], s[40:41]
	v_add_f64 v[136:137], v[136:137], v[142:143]
	;; [unrolled: 10-line block ×4, first 2 shown]
	v_add_f64 v[154:155], v[154:155], v[162:163]
	v_add_f64 v[152:153], v[152:153], v[160:161]
	v_mul_f64 v[160:161], v[106:107], s[50:51]
	v_fma_f64 v[158:159], v[114:115], s[30:31], v[156:157]
	v_fma_f64 v[156:157], v[114:115], s[30:31], -v[156:157]
	v_mul_f64 v[106:107], v[106:107], s[36:37]
	v_fma_f64 v[162:163], v[112:113], s[22:23], -v[160:161]
	v_fma_f64 v[160:161], v[112:113], s[22:23], v[160:161]
	v_add_f64 v[156:157], v[156:157], v[164:165]
	v_mul_f64 v[164:165], v[104:105], s[50:51]
	v_mul_f64 v[104:105], v[104:105], s[36:37]
	v_add_f64 v[158:159], v[158:159], v[166:167]
	v_add_f64 v[162:163], v[162:163], v[170:171]
	;; [unrolled: 1-line block ×3, first 2 shown]
	v_fma_f64 v[168:169], v[112:113], s[28:29], -v[106:107]
	v_fma_f64 v[106:107], v[112:113], s[28:29], v[106:107]
	v_fma_f64 v[170:171], v[114:115], s[28:29], v[104:105]
	v_fma_f64 v[104:105], v[114:115], s[28:29], -v[104:105]
	v_fma_f64 v[166:167], v[114:115], s[22:23], v[164:165]
	v_fma_f64 v[164:165], v[114:115], s[22:23], -v[164:165]
	v_add_f64 v[168:169], v[168:169], v[176:177]
	v_add_f64 v[0:1], v[106:107], v[0:1]
	;; [unrolled: 1-line block ×3, first 2 shown]
	v_add_f64 v[98:99], v[98:99], -v[102:103]
	v_add_f64 v[2:3], v[104:105], v[2:3]
	v_add_f64 v[104:105], v[96:97], v[100:101]
	v_add_f64 v[96:97], v[96:97], -v[100:101]
	v_add_f64 v[164:165], v[164:165], v[172:173]
	v_add_f64 v[166:167], v[166:167], v[174:175]
	;; [unrolled: 1-line block ×3, first 2 shown]
	v_add_f64 v[172:173], v[82:83], -v[86:87]
	v_cndmask_b32_e64 v177, v215, 0, vcc_lo
	v_cndmask_b32_e32 v176, v214, v44, vcc_lo
	v_mul_f64 v[100:101], v[98:99], s[16:17]
	v_fma_f64 v[102:103], v[104:105], s[14:15], -v[100:101]
	v_fma_f64 v[100:101], v[104:105], s[14:15], v[100:101]
	v_add_f64 v[102:103], v[102:103], v[110:111]
	v_mul_f64 v[110:111], v[96:97], s[16:17]
	v_add_f64 v[100:101], v[100:101], v[108:109]
	v_fma_f64 v[112:113], v[106:107], s[14:15], v[110:111]
	v_fma_f64 v[108:109], v[106:107], s[14:15], -v[110:111]
	v_mul_f64 v[110:111], v[98:99], s[58:59]
	v_add_f64 v[112:113], v[112:113], v[118:119]
	v_add_f64 v[108:109], v[108:109], v[116:117]
	v_fma_f64 v[114:115], v[104:105], s[30:31], -v[110:111]
	v_fma_f64 v[110:111], v[104:105], s[30:31], v[110:111]
	v_mul_f64 v[116:117], v[96:97], s[58:59]
	v_add_f64 v[114:115], v[114:115], v[122:123]
	v_add_f64 v[110:111], v[110:111], v[120:121]
	v_mul_f64 v[120:121], v[98:99], s[36:37]
	v_fma_f64 v[118:119], v[106:107], s[30:31], v[116:117]
	v_fma_f64 v[116:117], v[106:107], s[30:31], -v[116:117]
	v_fma_f64 v[122:123], v[104:105], s[28:29], -v[120:121]
	v_fma_f64 v[120:121], v[104:105], s[28:29], v[120:121]
	v_add_f64 v[116:117], v[116:117], v[124:125]
	v_mul_f64 v[124:125], v[96:97], s[36:37]
	v_add_f64 v[118:119], v[118:119], v[126:127]
	v_add_f64 v[122:123], v[122:123], v[130:131]
	v_add_f64 v[120:121], v[120:121], v[128:129]
	v_mul_f64 v[128:129], v[98:99], s[56:57]
	v_fma_f64 v[126:127], v[106:107], s[28:29], v[124:125]
	v_fma_f64 v[124:125], v[106:107], s[28:29], -v[124:125]
	v_fma_f64 v[130:131], v[104:105], s[18:19], -v[128:129]
	v_fma_f64 v[128:129], v[104:105], s[18:19], v[128:129]
	v_add_f64 v[124:125], v[124:125], v[132:133]
	v_mul_f64 v[132:133], v[96:97], s[56:57]
	v_add_f64 v[126:127], v[126:127], v[136:137]
	;; [unrolled: 10-line block ×4, first 2 shown]
	v_add_f64 v[146:147], v[146:147], v[154:155]
	v_add_f64 v[144:145], v[144:145], v[152:153]
	v_mul_f64 v[152:153], v[98:99], s[46:47]
	v_fma_f64 v[150:151], v[106:107], s[2:3], v[148:149]
	v_fma_f64 v[148:149], v[106:107], s[2:3], -v[148:149]
	v_mul_f64 v[98:99], v[98:99], s[26:27]
	v_fma_f64 v[154:155], v[104:105], s[38:39], -v[152:153]
	v_fma_f64 v[152:153], v[104:105], s[38:39], v[152:153]
	v_add_f64 v[148:149], v[148:149], v[156:157]
	v_mul_f64 v[156:157], v[96:97], s[46:47]
	v_mul_f64 v[96:97], v[96:97], s[26:27]
	v_add_f64 v[150:151], v[150:151], v[158:159]
	v_add_f64 v[154:155], v[154:155], v[162:163]
	;; [unrolled: 1-line block ×3, first 2 shown]
	v_fma_f64 v[160:161], v[104:105], s[22:23], -v[98:99]
	v_fma_f64 v[98:99], v[104:105], s[22:23], v[98:99]
	v_fma_f64 v[162:163], v[106:107], s[22:23], v[96:97]
	v_fma_f64 v[96:97], v[106:107], s[22:23], -v[96:97]
	v_fma_f64 v[158:159], v[106:107], s[38:39], v[156:157]
	v_fma_f64 v[156:157], v[106:107], s[38:39], -v[156:157]
	v_add_f64 v[160:161], v[160:161], v[168:169]
	v_add_f64 v[0:1], v[98:99], v[0:1]
	;; [unrolled: 1-line block ×3, first 2 shown]
	v_add_f64 v[90:91], v[90:91], -v[94:95]
	v_add_f64 v[2:3], v[96:97], v[2:3]
	v_add_f64 v[96:97], v[88:89], v[92:93]
	v_add_f64 v[88:89], v[88:89], -v[92:93]
	v_add_f64 v[156:157], v[156:157], v[164:165]
	v_add_f64 v[158:159], v[158:159], v[166:167]
	;; [unrolled: 1-line block ×4, first 2 shown]
	v_add_f64 v[170:171], v[80:81], -v[84:85]
	v_mul_f64 v[80:81], v[172:173], s[34:35]
	v_add_f64 v[168:169], v[82:83], v[86:87]
	v_mul_f64 v[92:93], v[90:91], s[26:27]
	v_mul_f64 v[86:87], v[170:171], s[24:25]
	v_fma_f64 v[82:83], v[166:167], s[30:31], -v[80:81]
	v_fma_f64 v[80:81], v[166:167], s[30:31], v[80:81]
	v_fma_f64 v[94:95], v[96:97], s[22:23], -v[92:93]
	v_fma_f64 v[92:93], v[96:97], s[22:23], v[92:93]
	v_add_f64 v[94:95], v[94:95], v[102:103]
	v_mul_f64 v[102:103], v[88:89], s[26:27]
	v_add_f64 v[92:93], v[92:93], v[100:101]
	v_fma_f64 v[104:105], v[98:99], s[22:23], v[102:103]
	v_fma_f64 v[100:101], v[98:99], s[22:23], -v[102:103]
	v_mul_f64 v[102:103], v[90:91], s[54:55]
	v_add_f64 v[104:105], v[104:105], v[112:113]
	v_add_f64 v[100:101], v[100:101], v[108:109]
	v_fma_f64 v[106:107], v[96:97], s[14:15], -v[102:103]
	v_mul_f64 v[108:109], v[88:89], s[54:55]
	v_fma_f64 v[102:103], v[96:97], s[14:15], v[102:103]
	v_add_f64 v[106:107], v[106:107], v[114:115]
	v_fma_f64 v[112:113], v[98:99], s[14:15], v[108:109]
	v_add_f64 v[102:103], v[102:103], v[110:111]
	v_fma_f64 v[108:109], v[98:99], s[14:15], -v[108:109]
	v_mul_f64 v[110:111], v[90:91], s[46:47]
	v_add_f64 v[112:113], v[112:113], v[118:119]
	v_add_f64 v[108:109], v[108:109], v[116:117]
	v_fma_f64 v[114:115], v[96:97], s[38:39], -v[110:111]
	v_mul_f64 v[116:117], v[88:89], s[46:47]
	v_fma_f64 v[110:111], v[96:97], s[38:39], v[110:111]
	v_add_f64 v[114:115], v[114:115], v[122:123]
	v_fma_f64 v[118:119], v[98:99], s[38:39], v[116:117]
	v_add_f64 v[110:111], v[110:111], v[120:121]
	;; [unrolled: 10-line block ×4, first 2 shown]
	v_mul_f64 v[134:135], v[90:91], s[52:53]
	v_fma_f64 v[132:133], v[98:99], s[2:3], -v[132:133]
	v_add_f64 v[164:165], v[136:137], v[142:143]
	v_add_f64 v[142:143], v[82:83], v[94:95]
	v_fma_f64 v[136:137], v[96:97], s[28:29], -v[134:135]
	v_fma_f64 v[134:135], v[96:97], s[28:29], v[134:135]
	v_mul_f64 v[82:83], v[170:171], s[34:35]
	v_add_f64 v[132:133], v[132:133], v[140:141]
	v_mul_f64 v[94:95], v[170:171], s[48:49]
	v_add_f64 v[146:147], v[136:137], v[146:147]
	v_mul_f64 v[136:137], v[88:89], s[52:53]
	v_add_f64 v[144:145], v[134:135], v[144:145]
	v_fma_f64 v[84:85], v[168:169], s[30:31], v[82:83]
	v_fma_f64 v[134:135], v[98:99], s[28:29], -v[136:137]
	v_fma_f64 v[138:139], v[98:99], s[28:29], v[136:137]
	v_add_f64 v[140:141], v[84:85], v[104:105]
	v_mul_f64 v[84:85], v[172:173], s[24:25]
	v_add_f64 v[148:149], v[134:135], v[148:149]
	v_mul_f64 v[134:135], v[90:91], s[44:45]
	v_mul_f64 v[90:91], v[90:91], s[24:25]
	v_add_f64 v[150:151], v[138:139], v[150:151]
	v_fma_f64 v[136:137], v[96:97], s[42:43], -v[134:135]
	v_fma_f64 v[134:135], v[96:97], s[42:43], v[134:135]
	v_add_f64 v[154:155], v[136:137], v[154:155]
	v_mul_f64 v[136:137], v[88:89], s[44:45]
	v_add_f64 v[152:153], v[134:135], v[152:153]
	v_mul_f64 v[88:89], v[88:89], s[24:25]
	v_fma_f64 v[134:135], v[98:99], s[42:43], -v[136:137]
	v_fma_f64 v[138:139], v[98:99], s[42:43], v[136:137]
	v_add_f64 v[156:157], v[134:135], v[156:157]
	v_fma_f64 v[134:135], v[96:97], s[18:19], -v[90:91]
	v_add_f64 v[158:159], v[138:139], v[158:159]
	v_add_f64 v[138:139], v[80:81], v[92:93]
	v_fma_f64 v[80:81], v[168:169], s[30:31], -v[82:83]
	v_fma_f64 v[82:83], v[168:169], s[18:19], v[86:87]
	v_mul_f64 v[92:93], v[172:173], s[48:49]
	v_fma_f64 v[86:87], v[168:169], s[18:19], -v[86:87]
	v_fma_f64 v[90:91], v[96:97], s[18:19], v[90:91]
	v_add_f64 v[160:161], v[134:135], v[160:161]
	v_fma_f64 v[134:135], v[98:99], s[18:19], v[88:89]
	v_fma_f64 v[88:89], v[98:99], s[18:19], -v[88:89]
	v_add_f64 v[136:137], v[80:81], v[100:101]
	v_add_f64 v[82:83], v[82:83], v[112:113]
	v_mul_f64 v[112:113], v[172:173], s[44:45]
	v_add_f64 v[86:87], v[86:87], v[108:109]
	v_mul_f64 v[108:109], v[172:173], s[46:47]
	v_fma_f64 v[80:81], v[166:167], s[18:19], -v[84:85]
	v_fma_f64 v[84:85], v[166:167], s[18:19], v[84:85]
	v_add_f64 v[0:1], v[90:91], v[0:1]
	v_fma_f64 v[90:91], v[168:169], s[2:3], v[94:95]
	v_fma_f64 v[94:95], v[168:169], s[2:3], -v[94:95]
	v_mul_f64 v[100:101], v[172:173], s[50:51]
	v_add_f64 v[162:163], v[134:135], v[162:163]
	v_add_f64 v[2:3], v[88:89], v[2:3]
	v_fma_f64 v[88:89], v[166:167], s[2:3], -v[92:93]
	v_fma_f64 v[92:93], v[166:167], s[2:3], v[92:93]
	v_fma_f64 v[104:105], v[166:167], s[38:39], -v[108:109]
	v_fma_f64 v[108:109], v[166:167], s[38:39], v[108:109]
	v_add_f64 v[84:85], v[84:85], v[102:103]
	v_mul_f64 v[102:103], v[170:171], s[50:51]
	v_add_f64 v[80:81], v[80:81], v[106:107]
	v_add_f64 v[94:95], v[94:95], v[116:117]
	v_fma_f64 v[96:97], v[166:167], s[22:23], -v[100:101]
	v_fma_f64 v[100:101], v[166:167], s[22:23], v[100:101]
	v_add_f64 v[90:91], v[90:91], v[118:119]
	v_add_f64 v[88:89], v[88:89], v[114:115]
	v_fma_f64 v[114:115], v[166:167], s[42:43], -v[112:113]
	v_fma_f64 v[112:113], v[166:167], s[42:43], v[112:113]
	v_add_f64 v[92:93], v[92:93], v[110:111]
	v_add_f64 v[104:105], v[104:105], v[130:131]
	;; [unrolled: 1-line block ×3, first 2 shown]
	v_mul_f64 v[110:111], v[170:171], s[46:47]
	v_fma_f64 v[98:99], v[168:169], s[22:23], v[102:103]
	v_fma_f64 v[102:103], v[168:169], s[22:23], -v[102:103]
	v_add_f64 v[96:97], v[96:97], v[122:123]
	v_add_f64 v[100:101], v[100:101], v[120:121]
	;; [unrolled: 1-line block ×3, first 2 shown]
	v_mul_f64 v[114:115], v[170:171], s[44:45]
	v_add_f64 v[130:131], v[112:113], v[144:145]
	v_mul_f64 v[144:145], v[170:171], s[16:17]
	v_add_f64 v[146:147], v[72:73], v[76:77]
	v_fma_f64 v[106:107], v[168:169], s[38:39], v[110:111]
	v_add_f64 v[98:99], v[98:99], v[126:127]
	v_fma_f64 v[110:111], v[168:169], s[38:39], -v[110:111]
	v_add_f64 v[102:103], v[102:103], v[124:125]
	v_fma_f64 v[112:113], v[168:169], s[42:43], -v[114:115]
	v_fma_f64 v[116:117], v[168:169], s[42:43], v[114:115]
	v_add_f64 v[106:107], v[106:107], v[164:165]
	v_add_f64 v[110:111], v[110:111], v[132:133]
	;; [unrolled: 1-line block ×3, first 2 shown]
	v_mul_f64 v[112:113], v[172:173], s[36:37]
	v_add_f64 v[132:133], v[116:117], v[150:151]
	v_add_f64 v[150:151], v[74:75], -v[78:79]
	v_add_f64 v[148:149], v[72:73], -v[76:77]
	v_fma_f64 v[114:115], v[166:167], s[28:29], -v[112:113]
	v_fma_f64 v[112:113], v[166:167], s[28:29], v[112:113]
	v_add_f64 v[126:127], v[114:115], v[154:155]
	v_mul_f64 v[114:115], v[170:171], s[36:37]
	v_add_f64 v[122:123], v[112:113], v[152:153]
	v_fma_f64 v[112:113], v[168:169], s[28:29], -v[114:115]
	v_fma_f64 v[116:117], v[168:169], s[28:29], v[114:115]
	v_add_f64 v[120:121], v[112:113], v[156:157]
	v_mul_f64 v[112:113], v[172:173], s[16:17]
	v_add_f64 v[124:125], v[116:117], v[158:159]
	v_fma_f64 v[114:115], v[166:167], s[14:15], -v[112:113]
	v_fma_f64 v[112:113], v[166:167], s[14:15], v[112:113]
	v_add_f64 v[118:119], v[114:115], v[160:161]
	v_fma_f64 v[114:115], v[168:169], s[14:15], v[144:145]
	v_add_f64 v[116:117], v[114:115], v[162:163]
	v_add_f64 v[114:115], v[112:113], v[0:1]
	v_fma_f64 v[0:1], v[168:169], s[14:15], -v[144:145]
	v_add_f64 v[144:145], v[74:75], v[78:79]
	v_add_f64 v[112:113], v[0:1], v[2:3]
	v_mul_f64 v[0:1], v[150:151], s[44:45]
	v_fma_f64 v[2:3], v[146:147], s[42:43], -v[0:1]
	v_fma_f64 v[0:1], v[146:147], s[42:43], v[0:1]
	v_add_f64 v[72:73], v[2:3], v[142:143]
	v_mul_f64 v[2:3], v[148:149], s[44:45]
	v_add_f64 v[76:77], v[0:1], v[138:139]
	v_fma_f64 v[0:1], v[144:145], s[42:43], -v[2:3]
	v_fma_f64 v[74:75], v[144:145], s[42:43], v[2:3]
	v_add_f64 v[78:79], v[0:1], v[136:137]
	v_mul_f64 v[0:1], v[150:151], s[40:41]
	v_add_f64 v[74:75], v[74:75], v[140:141]
	v_fma_f64 v[2:3], v[146:147], s[38:39], -v[0:1]
	v_fma_f64 v[0:1], v[146:147], s[38:39], v[0:1]
	v_add_f64 v[80:81], v[2:3], v[80:81]
	v_mul_f64 v[2:3], v[148:149], s[40:41]
	v_add_f64 v[84:85], v[0:1], v[84:85]
	v_fma_f64 v[0:1], v[144:145], s[38:39], -v[2:3]
	v_fma_f64 v[136:137], v[144:145], s[38:39], v[2:3]
	v_add_f64 v[86:87], v[0:1], v[86:87]
	v_mul_f64 v[0:1], v[150:151], s[34:35]
	v_add_f64 v[82:83], v[136:137], v[82:83]
	v_fma_f64 v[2:3], v[146:147], s[30:31], -v[0:1]
	v_fma_f64 v[0:1], v[146:147], s[30:31], v[0:1]
	v_add_f64 v[88:89], v[2:3], v[88:89]
	v_mul_f64 v[2:3], v[148:149], s[34:35]
	v_add_f64 v[92:93], v[0:1], v[92:93]
	v_fma_f64 v[0:1], v[144:145], s[30:31], -v[2:3]
	v_fma_f64 v[136:137], v[144:145], s[30:31], v[2:3]
	v_add_f64 v[94:95], v[0:1], v[94:95]
	v_mul_f64 v[0:1], v[150:151], s[36:37]
	v_add_f64 v[90:91], v[136:137], v[90:91]
	v_fma_f64 v[2:3], v[146:147], s[28:29], -v[0:1]
	v_fma_f64 v[0:1], v[146:147], s[28:29], v[0:1]
	v_add_f64 v[96:97], v[2:3], v[96:97]
	v_mul_f64 v[2:3], v[148:149], s[36:37]
	v_add_f64 v[100:101], v[0:1], v[100:101]
	v_fma_f64 v[0:1], v[144:145], s[28:29], -v[2:3]
	v_fma_f64 v[136:137], v[144:145], s[28:29], v[2:3]
	v_add_f64 v[102:103], v[0:1], v[102:103]
	v_mul_f64 v[0:1], v[150:151], s[26:27]
	v_add_f64 v[98:99], v[136:137], v[98:99]
	v_fma_f64 v[2:3], v[146:147], s[22:23], -v[0:1]
	v_fma_f64 v[0:1], v[146:147], s[22:23], v[0:1]
	v_add_f64 v[104:105], v[2:3], v[104:105]
	v_mul_f64 v[2:3], v[148:149], s[26:27]
	v_add_f64 v[108:109], v[0:1], v[108:109]
	v_fma_f64 v[136:137], v[144:145], s[22:23], v[2:3]
	v_fma_f64 v[0:1], v[144:145], s[22:23], -v[2:3]
	v_add_f64 v[106:107], v[136:137], v[106:107]
	v_mul_f64 v[136:137], v[150:151], s[24:25]
	v_add_f64 v[110:111], v[0:1], v[110:111]
	v_fma_f64 v[0:1], v[146:147], s[18:19], -v[136:137]
	v_add_f64 v[0:1], v[0:1], v[134:135]
	v_mul_f64 v[134:135], v[148:149], s[24:25]
	v_fma_f64 v[2:3], v[144:145], s[18:19], v[134:135]
	v_add_f64 v[2:3], v[2:3], v[132:133]
	v_fma_f64 v[132:133], v[146:147], s[18:19], v[136:137]
	v_mul_f64 v[136:137], v[148:149], s[16:17]
	v_add_f64 v[130:131], v[132:133], v[130:131]
	v_fma_f64 v[132:133], v[144:145], s[18:19], -v[134:135]
	v_mul_f64 v[134:135], v[150:151], s[16:17]
	v_add_f64 v[132:133], v[132:133], v[128:129]
	v_fma_f64 v[128:129], v[146:147], s[14:15], -v[134:135]
	v_add_f64 v[126:127], v[128:129], v[126:127]
	v_fma_f64 v[128:129], v[144:145], s[14:15], v[136:137]
	v_add_f64 v[128:129], v[128:129], v[124:125]
	v_fma_f64 v[124:125], v[146:147], s[14:15], v[134:135]
	v_mul_f64 v[134:135], v[150:151], s[20:21]
	v_add_f64 v[122:123], v[124:125], v[122:123]
	v_fma_f64 v[124:125], v[144:145], s[14:15], -v[136:137]
	v_mul_f64 v[136:137], v[148:149], s[20:21]
	v_add_f64 v[124:125], v[124:125], v[120:121]
	v_fma_f64 v[120:121], v[146:147], s[2:3], -v[134:135]
	v_add_f64 v[118:119], v[120:121], v[118:119]
	v_fma_f64 v[120:121], v[144:145], s[2:3], v[136:137]
	v_add_f64 v[120:121], v[120:121], v[116:117]
	v_fma_f64 v[116:117], v[146:147], s[2:3], v[134:135]
	v_add_f64 v[114:115], v[116:117], v[114:115]
	v_fma_f64 v[116:117], v[144:145], s[2:3], -v[136:137]
	v_add_f64 v[116:117], v[116:117], v[112:113]
	ds_write_b128 v243, v[68:71]
	ds_write_b128 v243, v[72:75] offset:16
	ds_write_b128 v243, v[80:83] offset:32
	ds_write_b128 v243, v[88:91] offset:48
	ds_write_b128 v243, v[96:99] offset:64
	ds_write_b128 v243, v[104:107] offset:80
	ds_write_b128 v243, v[0:3] offset:96
	ds_write_b128 v243, v[126:129] offset:112
	ds_write_b128 v243, v[118:121] offset:128
	ds_write_b128 v243, v[114:117] offset:144
	ds_write_b128 v243, v[122:125] offset:160
	ds_write_b128 v243, v[130:133] offset:176
	ds_write_b128 v243, v[108:111] offset:192
	ds_write_b128 v243, v[100:103] offset:208
	ds_write_b128 v243, v[92:95] offset:224
	ds_write_b128 v243, v[84:87] offset:240
	ds_write_b128 v243, v[76:79] offset:256
	v_lshlrev_b64 v[68:69], 8, v[176:177]
	s_waitcnt lgkmcnt(0)
	s_barrier
	buffer_gl0_inv
	ds_read_b128 v[136:139], v255
	ds_read_b128 v[0:3], v255 offset:544
	ds_read_b128 v[80:83], v255 offset:1088
	;; [unrolled: 1-line block ×16, first 2 shown]
	buffer_store_dword v44, off, s[64:67], 0 ; 4-byte Folded Spill
	v_add_co_u32 v205, s0, s10, v68
	v_add_co_ci_u32_e64 v206, s0, s11, v69, s0
	s_clause 0x3
	global_load_dwordx4 v[68:71], v[205:206], off offset:48
	global_load_dwordx4 v[72:75], v[205:206], off offset:32
	;; [unrolled: 1-line block ×3, first 2 shown]
	global_load_dwordx4 v[104:107], v[205:206], off
	v_cmp_lt_u16_e64 s0, 16, v211
	s_waitcnt vmcnt(0) lgkmcnt(15)
	v_mul_f64 v[92:93], v[2:3], v[106:107]
	v_fma_f64 v[207:208], v[0:1], v[104:105], -v[92:93]
	v_mul_f64 v[0:1], v[0:1], v[106:107]
	v_fma_f64 v[195:196], v[2:3], v[104:105], v[0:1]
	s_waitcnt lgkmcnt(14)
	v_mul_f64 v[0:1], v[82:83], v[78:79]
	s_waitcnt lgkmcnt(12)
	v_mul_f64 v[2:3], v[90:91], v[70:71]
	v_fma_f64 v[193:194], v[80:81], v[76:77], -v[0:1]
	v_mul_f64 v[0:1], v[80:81], v[78:79]
	v_fma_f64 v[187:188], v[88:89], v[68:69], -v[2:3]
	v_mul_f64 v[2:3], v[88:89], v[70:71]
	v_fma_f64 v[191:192], v[82:83], v[76:77], v[0:1]
	v_mul_f64 v[0:1], v[86:87], v[74:75]
	v_fma_f64 v[185:186], v[90:91], v[68:69], v[2:3]
	v_fma_f64 v[189:190], v[84:85], v[72:73], -v[0:1]
	v_mul_f64 v[0:1], v[84:85], v[74:75]
	v_fma_f64 v[0:1], v[86:87], v[72:73], v[0:1]
	s_clause 0x3
	global_load_dwordx4 v[80:83], v[205:206], off offset:112
	global_load_dwordx4 v[84:87], v[205:206], off offset:96
	;; [unrolled: 1-line block ×4, first 2 shown]
	s_waitcnt vmcnt(0) lgkmcnt(11)
	v_mul_f64 v[2:3], v[98:99], v[114:115]
	v_fma_f64 v[181:182], v[96:97], v[112:113], -v[2:3]
	v_mul_f64 v[2:3], v[96:97], v[114:115]
	v_fma_f64 v[177:178], v[98:99], v[112:113], v[2:3]
	s_waitcnt lgkmcnt(10)
	v_mul_f64 v[2:3], v[102:103], v[94:95]
	v_fma_f64 v[172:173], v[100:101], v[92:93], -v[2:3]
	v_mul_f64 v[2:3], v[100:101], v[94:95]
	v_fma_f64 v[168:169], v[102:103], v[92:93], v[2:3]
	s_waitcnt lgkmcnt(9)
	v_mul_f64 v[2:3], v[110:111], v[86:87]
	v_fma_f64 v[164:165], v[108:109], v[84:85], -v[2:3]
	v_mul_f64 v[2:3], v[108:109], v[86:87]
	v_fma_f64 v[160:161], v[110:111], v[84:85], v[2:3]
	s_clause 0x3
	global_load_dwordx4 v[88:91], v[205:206], off offset:176
	global_load_dwordx4 v[96:99], v[205:206], off offset:160
	;; [unrolled: 1-line block ×4, first 2 shown]
	s_waitcnt lgkmcnt(8)
	v_mul_f64 v[2:3], v[118:119], v[82:83]
	v_fma_f64 v[156:157], v[116:117], v[80:81], -v[2:3]
	v_mul_f64 v[2:3], v[116:117], v[82:83]
	v_fma_f64 v[152:153], v[118:119], v[80:81], v[2:3]
	s_waitcnt vmcnt(0) lgkmcnt(7)
	v_mul_f64 v[2:3], v[122:123], v[126:127]
	v_fma_f64 v[158:159], v[120:121], v[124:125], -v[2:3]
	v_mul_f64 v[2:3], v[120:121], v[126:127]
	v_fma_f64 v[154:155], v[122:123], v[124:125], v[2:3]
	s_waitcnt lgkmcnt(6)
	v_mul_f64 v[2:3], v[130:131], v[110:111]
	v_fma_f64 v[166:167], v[128:129], v[108:109], -v[2:3]
	v_mul_f64 v[2:3], v[128:129], v[110:111]
	v_fma_f64 v[162:163], v[130:131], v[108:109], v[2:3]
	s_clause 0x3
	global_load_dwordx4 v[100:103], v[205:206], off offset:240
	global_load_dwordx4 v[116:119], v[205:206], off offset:224
	;; [unrolled: 1-line block ×4, first 2 shown]
	s_waitcnt lgkmcnt(5)
	v_mul_f64 v[2:3], v[199:200], v[98:99]
	s_waitcnt vmcnt(0) lgkmcnt(0)
	s_waitcnt_vscnt null, 0x0
	s_barrier
	buffer_gl0_inv
	v_fma_f64 v[174:175], v[197:198], v[96:97], -v[2:3]
	v_mul_f64 v[2:3], v[197:198], v[98:99]
	v_fma_f64 v[170:171], v[199:200], v[96:97], v[2:3]
	v_mul_f64 v[2:3], v[203:204], v[90:91]
	v_fma_f64 v[183:184], v[201:202], v[88:89], -v[2:3]
	v_mul_f64 v[2:3], v[201:202], v[90:91]
	v_fma_f64 v[179:180], v[203:204], v[88:89], v[2:3]
	v_mul_f64 v[2:3], v[150:151], v[130:131]
	;; [unrolled: 4-line block ×5, first 2 shown]
	v_fma_f64 v[197:198], v[132:133], v[100:101], -v[142:143]
	v_mul_f64 v[132:133], v[132:133], v[102:103]
	v_add_f64 v[216:217], v[207:208], v[197:198]
	v_fma_f64 v[199:200], v[134:135], v[100:101], v[132:133]
	v_add_f64 v[132:133], v[136:137], v[207:208]
	v_add_f64 v[134:135], v[138:139], v[195:196]
	v_add_f64 v[218:219], v[207:208], -v[197:198]
	v_add_f64 v[225:226], v[195:196], -v[199:200]
	v_add_f64 v[132:133], v[132:133], v[193:194]
	v_add_f64 v[134:135], v[134:135], v[191:192]
	;; [unrolled: 1-line block ×3, first 2 shown]
	v_mul_f64 v[209:210], v[218:219], s[52:53]
	v_mul_f64 v[231:232], v[218:219], s[56:57]
	;; [unrolled: 1-line block ×7, first 2 shown]
	v_add_f64 v[132:133], v[132:133], v[189:190]
	v_add_f64 v[134:135], v[134:135], v[0:1]
	v_mul_f64 v[207:208], v[225:226], s[52:53]
	v_mul_f64 v[227:228], v[225:226], s[56:57]
	;; [unrolled: 1-line block ×4, first 2 shown]
	v_fma_f64 v[205:206], v[142:143], s[28:29], v[209:210]
	v_fma_f64 v[209:210], v[142:143], s[28:29], -v[209:210]
	v_fma_f64 v[233:234], v[142:143], s[18:19], v[231:232]
	v_fma_f64 v[231:232], v[142:143], s[18:19], -v[231:232]
	;; [unrolled: 2-line block ×6, first 2 shown]
	v_fma_f64 v[221:222], v[216:217], s[22:23], -v[244:245]
	v_add_f64 v[132:133], v[132:133], v[187:188]
	v_add_f64 v[134:135], v[134:135], v[185:186]
	v_fma_f64 v[6:7], v[216:217], s[22:23], v[244:245]
	v_mul_f64 v[244:245], v[225:226], s[34:35]
	v_fma_f64 v[203:204], v[216:217], s[28:29], -v[207:208]
	v_fma_f64 v[207:208], v[216:217], s[28:29], v[207:208]
	v_fma_f64 v[229:230], v[216:217], s[18:19], -v[227:228]
	v_fma_f64 v[227:228], v[216:217], s[18:19], v[227:228]
	;; [unrolled: 2-line block ×4, first 2 shown]
	v_add_f64 v[205:206], v[138:139], v[205:206]
	v_add_f64 v[209:210], v[138:139], v[209:210]
	;; [unrolled: 1-line block ×13, first 2 shown]
	v_fma_f64 v[8:9], v[216:217], s[30:31], -v[244:245]
	v_fma_f64 v[14:15], v[216:217], s[30:31], v[244:245]
	v_add_f64 v[203:204], v[136:137], v[203:204]
	v_add_f64 v[207:208], v[136:137], v[207:208]
	;; [unrolled: 1-line block ×34, first 2 shown]
	v_mul_f64 v[197:198], v[225:226], s[46:47]
	v_mul_f64 v[225:226], v[225:226], s[44:45]
	v_add_f64 v[134:135], v[134:135], v[199:200]
	v_mul_f64 v[199:200], v[218:219], s[46:47]
	v_mul_f64 v[218:219], v[218:219], s[44:45]
	v_fma_f64 v[195:196], v[216:217], s[38:39], -v[197:198]
	v_fma_f64 v[197:198], v[216:217], s[38:39], v[197:198]
	v_fma_f64 v[244:245], v[216:217], s[42:43], -v[225:226]
	v_fma_f64 v[18:19], v[216:217], s[42:43], v[225:226]
	v_fma_f64 v[16:17], v[142:143], s[42:43], v[218:219]
	v_add_f64 v[201:202], v[136:137], v[195:196]
	v_fma_f64 v[195:196], v[142:143], s[38:39], v[199:200]
	v_add_f64 v[197:198], v[136:137], v[197:198]
	v_fma_f64 v[199:200], v[142:143], s[38:39], -v[199:200]
	v_add_f64 v[244:245], v[136:137], v[244:245]
	v_add_f64 v[18:19], v[136:137], v[18:19]
	v_fma_f64 v[136:137], v[142:143], s[42:43], -v[218:219]
	v_add_f64 v[142:143], v[191:192], v[140:141]
	v_add_f64 v[140:141], v[191:192], -v[140:141]
	v_add_f64 v[16:17], v[138:139], v[16:17]
	v_add_f64 v[195:196], v[138:139], v[195:196]
	;; [unrolled: 1-line block ×5, first 2 shown]
	v_mul_f64 v[191:192], v[140:141], s[52:53]
	v_add_f64 v[146:147], v[193:194], -v[146:147]
	v_mul_f64 v[225:226], v[140:141], s[44:45]
	v_fma_f64 v[193:194], v[138:139], s[28:29], -v[191:192]
	v_fma_f64 v[191:192], v[138:139], s[28:29], v[191:192]
	v_add_f64 v[193:194], v[193:194], v[201:202]
	v_mul_f64 v[201:202], v[146:147], s[52:53]
	v_add_f64 v[191:192], v[191:192], v[197:198]
	v_fma_f64 v[197:198], v[142:143], s[28:29], -v[201:202]
	v_fma_f64 v[216:217], v[142:143], s[28:29], v[201:202]
	v_add_f64 v[197:198], v[197:198], v[199:200]
	v_mul_f64 v[199:200], v[140:141], s[48:49]
	v_add_f64 v[195:196], v[216:217], v[195:196]
	;; [unrolled: 5-line block ×3, first 2 shown]
	v_mul_f64 v[207:208], v[140:141], s[26:27]
	v_fma_f64 v[216:217], v[142:143], s[2:3], v[203:204]
	v_fma_f64 v[203:204], v[142:143], s[2:3], -v[203:204]
	v_add_f64 v[205:206], v[216:217], v[205:206]
	v_add_f64 v[203:204], v[203:204], v[209:210]
	v_fma_f64 v[209:210], v[138:139], s[22:23], -v[207:208]
	v_mul_f64 v[216:217], v[146:147], s[26:27]
	v_fma_f64 v[207:208], v[138:139], s[22:23], v[207:208]
	v_add_f64 v[209:210], v[209:210], v[229:230]
	v_fma_f64 v[218:219], v[142:143], s[22:23], v[216:217]
	v_fma_f64 v[216:217], v[142:143], s[22:23], -v[216:217]
	v_mul_f64 v[229:230], v[146:147], s[44:45]
	v_add_f64 v[207:208], v[207:208], v[227:228]
	v_fma_f64 v[227:228], v[138:139], s[42:43], -v[225:226]
	v_fma_f64 v[225:226], v[138:139], s[42:43], v[225:226]
	v_add_f64 v[218:219], v[218:219], v[233:234]
	v_add_f64 v[216:217], v[216:217], v[231:232]
	v_fma_f64 v[231:232], v[142:143], s[42:43], v[229:230]
	v_mul_f64 v[233:234], v[140:141], s[58:59]
	v_add_f64 v[227:228], v[227:228], v[237:238]
	v_add_f64 v[225:226], v[225:226], v[235:236]
	v_mul_f64 v[237:238], v[146:147], s[58:59]
	v_fma_f64 v[229:230], v[142:143], s[42:43], -v[229:230]
	v_add_f64 v[231:232], v[231:232], v[241:242]
	v_fma_f64 v[235:236], v[138:139], s[30:31], -v[233:234]
	v_fma_f64 v[233:234], v[138:139], s[30:31], v[233:234]
	v_mul_f64 v[241:242], v[140:141], s[54:55]
	v_add_f64 v[229:230], v[229:230], v[239:240]
	v_fma_f64 v[239:240], v[142:143], s[30:31], v[237:238]
	v_fma_f64 v[237:238], v[142:143], s[30:31], -v[237:238]
	v_add_f64 v[235:236], v[235:236], v[248:249]
	v_add_f64 v[233:234], v[233:234], v[246:247]
	v_fma_f64 v[246:247], v[138:139], s[14:15], -v[241:242]
	v_fma_f64 v[241:242], v[138:139], s[14:15], v[241:242]
	v_add_f64 v[239:240], v[239:240], v[252:253]
	v_add_f64 v[237:238], v[237:238], v[250:251]
	;; [unrolled: 1-line block ×3, first 2 shown]
	v_mul_f64 v[246:247], v[146:147], s[54:55]
	v_add_f64 v[6:7], v[241:242], v[6:7]
	v_fma_f64 v[241:242], v[142:143], s[14:15], -v[246:247]
	v_fma_f64 v[248:249], v[142:143], s[14:15], v[246:247]
	v_add_f64 v[223:224], v[241:242], v[223:224]
	v_mul_f64 v[241:242], v[140:141], s[24:25]
	v_mul_f64 v[140:141], v[140:141], s[40:41]
	v_add_f64 v[4:5], v[248:249], v[4:5]
	v_fma_f64 v[246:247], v[138:139], s[18:19], -v[241:242]
	v_fma_f64 v[241:242], v[138:139], s[18:19], v[241:242]
	v_add_f64 v[8:9], v[246:247], v[8:9]
	v_mul_f64 v[246:247], v[146:147], s[24:25]
	v_add_f64 v[14:15], v[241:242], v[14:15]
	v_mul_f64 v[146:147], v[146:147], s[40:41]
	v_fma_f64 v[241:242], v[142:143], s[18:19], -v[246:247]
	v_fma_f64 v[248:249], v[142:143], s[18:19], v[246:247]
	v_add_f64 v[246:247], v[185:186], -v[148:149]
	v_add_f64 v[10:11], v[241:242], v[10:11]
	v_fma_f64 v[241:242], v[138:139], s[38:39], -v[140:141]
	v_fma_f64 v[138:139], v[138:139], s[38:39], v[140:141]
	v_add_f64 v[140:141], v[0:1], v[144:145]
	v_add_f64 v[0:1], v[0:1], -v[144:145]
	v_add_f64 v[12:13], v[248:249], v[12:13]
	v_add_f64 v[241:242], v[241:242], v[244:245]
	;; [unrolled: 1-line block ×3, first 2 shown]
	v_fma_f64 v[138:139], v[142:143], s[38:39], -v[146:147]
	v_mul_f64 v[144:145], v[0:1], s[56:57]
	v_fma_f64 v[244:245], v[142:143], s[38:39], v[146:147]
	v_add_f64 v[142:143], v[189:190], -v[150:151]
	v_add_f64 v[136:137], v[138:139], v[136:137]
	v_add_f64 v[138:139], v[189:190], v[150:151]
	;; [unrolled: 1-line block ×3, first 2 shown]
	v_mul_f64 v[150:151], v[142:143], s[56:57]
	v_add_f64 v[244:245], v[187:188], -v[2:3]
	v_fma_f64 v[146:147], v[138:139], s[18:19], -v[144:145]
	v_fma_f64 v[144:145], v[138:139], s[18:19], v[144:145]
	v_fma_f64 v[189:190], v[140:141], s[18:19], v[150:151]
	v_fma_f64 v[150:151], v[140:141], s[18:19], -v[150:151]
	v_add_f64 v[146:147], v[146:147], v[193:194]
	v_add_f64 v[144:145], v[144:145], v[191:192]
	v_mul_f64 v[191:192], v[0:1], s[26:27]
	v_add_f64 v[189:190], v[189:190], v[195:196]
	v_mul_f64 v[195:196], v[142:143], s[26:27]
	v_add_f64 v[150:151], v[150:151], v[197:198]
	v_fma_f64 v[193:194], v[138:139], s[22:23], -v[191:192]
	v_fma_f64 v[191:192], v[138:139], s[22:23], v[191:192]
	v_fma_f64 v[197:198], v[140:141], s[22:23], v[195:196]
	v_fma_f64 v[195:196], v[140:141], s[22:23], -v[195:196]
	v_add_f64 v[193:194], v[193:194], v[201:202]
	v_add_f64 v[191:192], v[191:192], v[199:200]
	v_mul_f64 v[199:200], v[0:1], s[60:61]
	v_add_f64 v[195:196], v[195:196], v[203:204]
	v_mul_f64 v[203:204], v[142:143], s[60:61]
	v_add_f64 v[197:198], v[197:198], v[205:206]
	;; [unrolled: 10-line block ×4, first 2 shown]
	v_fma_f64 v[227:228], v[138:139], s[28:29], -v[225:226]
	v_fma_f64 v[225:226], v[138:139], s[28:29], v[225:226]
	v_fma_f64 v[231:232], v[140:141], s[28:29], v[229:230]
	v_fma_f64 v[229:230], v[140:141], s[28:29], -v[229:230]
	v_add_f64 v[227:228], v[227:228], v[235:236]
	v_add_f64 v[225:226], v[225:226], v[233:234]
	v_mul_f64 v[233:234], v[0:1], s[46:47]
	v_add_f64 v[229:230], v[229:230], v[237:238]
	v_add_f64 v[231:232], v[231:232], v[239:240]
	;; [unrolled: 1-line block ×3, first 2 shown]
	v_mul_f64 v[185:186], v[244:245], s[54:55]
	v_fma_f64 v[235:236], v[138:139], s[38:39], -v[233:234]
	v_fma_f64 v[233:234], v[138:139], s[38:39], v[233:234]
	v_fma_f64 v[148:149], v[239:240], s[14:15], v[185:186]
	v_fma_f64 v[185:186], v[239:240], s[14:15], -v[185:186]
	v_add_f64 v[221:222], v[235:236], v[221:222]
	v_mul_f64 v[235:236], v[142:143], s[46:47]
	v_add_f64 v[6:7], v[233:234], v[6:7]
	v_add_f64 v[148:149], v[148:149], v[205:206]
	;; [unrolled: 1-line block ×3, first 2 shown]
	v_fma_f64 v[233:234], v[140:141], s[38:39], -v[235:236]
	v_fma_f64 v[237:238], v[140:141], s[38:39], v[235:236]
	v_add_f64 v[223:224], v[233:234], v[223:224]
	v_mul_f64 v[233:234], v[0:1], s[48:49]
	v_mul_f64 v[0:1], v[0:1], s[34:35]
	v_add_f64 v[4:5], v[237:238], v[4:5]
	v_fma_f64 v[235:236], v[138:139], s[2:3], -v[233:234]
	v_fma_f64 v[233:234], v[138:139], s[2:3], v[233:234]
	v_add_f64 v[8:9], v[235:236], v[8:9]
	v_mul_f64 v[235:236], v[142:143], s[48:49]
	v_add_f64 v[14:15], v[233:234], v[14:15]
	v_mul_f64 v[142:143], v[142:143], s[34:35]
	v_fma_f64 v[233:234], v[140:141], s[2:3], -v[235:236]
	v_fma_f64 v[237:238], v[140:141], s[2:3], v[235:236]
	v_fma_f64 v[235:236], v[140:141], s[30:31], v[142:143]
	v_add_f64 v[10:11], v[233:234], v[10:11]
	v_fma_f64 v[233:234], v[138:139], s[30:31], -v[0:1]
	v_fma_f64 v[0:1], v[138:139], s[30:31], v[0:1]
	v_add_f64 v[12:13], v[237:238], v[12:13]
	v_add_f64 v[237:238], v[187:188], v[2:3]
	v_mul_f64 v[2:3], v[246:247], s[48:49]
	v_add_f64 v[16:17], v[235:236], v[16:17]
	v_add_f64 v[233:234], v[233:234], v[241:242]
	;; [unrolled: 1-line block ×3, first 2 shown]
	v_fma_f64 v[0:1], v[140:141], s[30:31], -v[142:143]
	v_mul_f64 v[142:143], v[246:247], s[44:45]
	v_add_f64 v[235:236], v[0:1], v[136:137]
	v_fma_f64 v[138:139], v[237:238], s[42:43], -v[142:143]
	v_fma_f64 v[142:143], v[237:238], s[42:43], v[142:143]
	v_fma_f64 v[0:1], v[237:238], s[2:3], -v[2:3]
	v_mul_f64 v[136:137], v[244:245], s[48:49]
	v_fma_f64 v[2:3], v[237:238], s[2:3], v[2:3]
	v_add_f64 v[138:139], v[138:139], v[193:194]
	v_add_f64 v[142:143], v[142:143], v[191:192]
	v_mul_f64 v[191:192], v[246:247], s[40:41]
	v_add_f64 v[241:242], v[0:1], v[146:147]
	v_fma_f64 v[0:1], v[239:240], s[2:3], v[136:137]
	v_fma_f64 v[136:137], v[239:240], s[2:3], -v[136:137]
	v_add_f64 v[2:3], v[2:3], v[144:145]
	v_mul_f64 v[144:145], v[244:245], s[44:45]
	v_mul_f64 v[193:194], v[244:245], s[40:41]
	v_fma_f64 v[187:188], v[237:238], s[38:39], -v[191:192]
	v_fma_f64 v[191:192], v[237:238], s[38:39], v[191:192]
	v_add_f64 v[0:1], v[0:1], v[189:190]
	v_add_f64 v[136:137], v[136:137], v[150:151]
	v_mul_f64 v[150:151], v[246:247], s[54:55]
	v_fma_f64 v[140:141], v[239:240], s[42:43], v[144:145]
	v_fma_f64 v[144:145], v[239:240], s[42:43], -v[144:145]
	v_fma_f64 v[189:190], v[239:240], s[38:39], v[193:194]
	v_fma_f64 v[193:194], v[239:240], s[38:39], -v[193:194]
	v_add_f64 v[187:188], v[187:188], v[209:210]
	v_mul_f64 v[209:210], v[244:245], s[34:35]
	v_add_f64 v[191:192], v[191:192], v[207:208]
	v_mul_f64 v[207:208], v[246:247], s[34:35]
	v_fma_f64 v[146:147], v[237:238], s[14:15], -v[150:151]
	v_fma_f64 v[150:151], v[237:238], s[14:15], v[150:151]
	v_add_f64 v[144:145], v[144:145], v[195:196]
	v_add_f64 v[140:141], v[140:141], v[197:198]
	v_add_f64 v[193:194], v[193:194], v[216:217]
	v_add_f64 v[189:190], v[189:190], v[218:219]
	v_fma_f64 v[205:206], v[239:240], s[30:31], v[209:210]
	v_fma_f64 v[203:204], v[237:238], s[30:31], -v[207:208]
	v_add_f64 v[146:147], v[146:147], v[201:202]
	v_add_f64 v[150:151], v[150:151], v[199:200]
	v_mul_f64 v[199:200], v[246:247], s[56:57]
	v_mul_f64 v[201:202], v[244:245], s[56:57]
	v_add_f64 v[205:206], v[205:206], v[4:5]
	v_fma_f64 v[4:5], v[237:238], s[30:31], v[207:208]
	v_add_f64 v[203:204], v[203:204], v[221:222]
	v_fma_f64 v[195:196], v[237:238], s[18:19], -v[199:200]
	v_fma_f64 v[199:200], v[237:238], s[18:19], v[199:200]
	v_fma_f64 v[197:198], v[239:240], s[18:19], v[201:202]
	v_fma_f64 v[201:202], v[239:240], s[18:19], -v[201:202]
	v_add_f64 v[207:208], v[4:5], v[6:7]
	v_fma_f64 v[4:5], v[239:240], s[30:31], -v[209:210]
	v_add_f64 v[195:196], v[195:196], v[227:228]
	v_add_f64 v[199:200], v[199:200], v[225:226]
	;; [unrolled: 1-line block ×5, first 2 shown]
	v_mul_f64 v[4:5], v[246:247], s[50:51]
	v_fma_f64 v[6:7], v[237:238], s[22:23], -v[4:5]
	v_fma_f64 v[4:5], v[237:238], s[22:23], v[4:5]
	v_add_f64 v[216:217], v[6:7], v[8:9]
	v_mul_f64 v[6:7], v[244:245], s[50:51]
	v_add_f64 v[225:226], v[4:5], v[14:15]
	v_fma_f64 v[4:5], v[239:240], s[22:23], -v[6:7]
	v_fma_f64 v[8:9], v[239:240], s[22:23], v[6:7]
	v_add_f64 v[227:228], v[4:5], v[10:11]
	v_mul_f64 v[4:5], v[246:247], s[36:37]
	v_add_f64 v[218:219], v[8:9], v[12:13]
	v_fma_f64 v[6:7], v[237:238], s[28:29], -v[4:5]
	v_fma_f64 v[4:5], v[237:238], s[28:29], v[4:5]
	v_add_f64 v[237:238], v[177:178], v[179:180]
	v_add_f64 v[229:230], v[6:7], v[233:234]
	v_mul_f64 v[6:7], v[244:245], s[36:37]
	v_add_f64 v[233:234], v[4:5], v[18:19]
	v_fma_f64 v[4:5], v[239:240], s[28:29], -v[6:7]
	v_fma_f64 v[8:9], v[239:240], s[28:29], v[6:7]
	v_add_f64 v[239:240], v[181:182], v[183:184]
	v_add_f64 v[181:182], v[181:182], -v[183:184]
	v_add_f64 v[235:236], v[4:5], v[235:236]
	v_add_f64 v[4:5], v[177:178], -v[179:180]
	v_add_f64 v[231:232], v[8:9], v[16:17]
	v_mul_f64 v[10:11], v[181:182], s[16:17]
	v_mul_f64 v[14:15], v[181:182], s[58:59]
	;; [unrolled: 1-line block ×5, first 2 shown]
	v_fma_f64 v[12:13], v[237:238], s[14:15], v[10:11]
	v_fma_f64 v[16:17], v[237:238], s[30:31], v[14:15]
	v_fma_f64 v[14:15], v[237:238], s[30:31], -v[14:15]
	v_fma_f64 v[183:184], v[237:238], s[42:43], v[179:180]
	v_fma_f64 v[179:180], v[237:238], s[42:43], -v[179:180]
	v_fma_f64 v[8:9], v[239:240], s[14:15], -v[6:7]
	v_fma_f64 v[6:7], v[239:240], s[14:15], v[6:7]
	v_add_f64 v[0:1], v[12:13], v[0:1]
	v_add_f64 v[16:17], v[16:17], v[140:141]
	;; [unrolled: 1-line block ×4, first 2 shown]
	v_mul_f64 v[197:198], v[181:182], s[46:47]
	v_add_f64 v[179:180], v[179:180], v[201:202]
	v_add_f64 v[8:9], v[8:9], v[241:242]
	;; [unrolled: 1-line block ×3, first 2 shown]
	v_fma_f64 v[6:7], v[237:238], s[14:15], -v[10:11]
	v_mul_f64 v[10:11], v[4:5], s[58:59]
	v_add_f64 v[6:7], v[6:7], v[136:137]
	v_fma_f64 v[12:13], v[239:240], s[30:31], -v[10:11]
	v_fma_f64 v[10:11], v[239:240], s[30:31], v[10:11]
	v_fma_f64 v[136:137], v[239:240], s[28:29], -v[18:19]
	v_fma_f64 v[18:19], v[239:240], s[28:29], v[18:19]
	v_add_f64 v[12:13], v[12:13], v[138:139]
	v_mul_f64 v[138:139], v[181:182], s[36:37]
	v_add_f64 v[10:11], v[10:11], v[142:143]
	v_add_f64 v[136:137], v[136:137], v[146:147]
	v_mul_f64 v[142:143], v[4:5], s[56:57]
	v_mul_f64 v[146:147], v[181:182], s[56:57]
	v_add_f64 v[18:19], v[18:19], v[150:151]
	v_mul_f64 v[150:151], v[4:5], s[44:45]
	v_fma_f64 v[140:141], v[237:238], s[28:29], v[138:139]
	v_fma_f64 v[138:139], v[237:238], s[28:29], -v[138:139]
	v_fma_f64 v[144:145], v[239:240], s[18:19], -v[142:143]
	v_fma_f64 v[142:143], v[239:240], s[18:19], v[142:143]
	v_fma_f64 v[177:178], v[239:240], s[42:43], -v[150:151]
	v_fma_f64 v[150:151], v[239:240], s[42:43], v[150:151]
	v_add_f64 v[140:141], v[140:141], v[148:149]
	v_add_f64 v[138:139], v[138:139], v[185:186]
	v_fma_f64 v[148:149], v[237:238], s[18:19], v[146:147]
	v_mul_f64 v[185:186], v[4:5], s[20:21]
	v_add_f64 v[144:145], v[144:145], v[187:188]
	v_add_f64 v[142:143], v[142:143], v[191:192]
	v_fma_f64 v[146:147], v[237:238], s[18:19], -v[146:147]
	v_add_f64 v[150:151], v[150:151], v[199:200]
	v_fma_f64 v[199:200], v[237:238], s[38:39], v[197:198]
	v_add_f64 v[177:178], v[177:178], v[195:196]
	v_fma_f64 v[197:198], v[237:238], s[38:39], -v[197:198]
	v_add_f64 v[148:149], v[148:149], v[189:190]
	v_fma_f64 v[187:188], v[239:240], s[2:3], -v[185:186]
	v_mul_f64 v[189:190], v[181:182], s[20:21]
	v_fma_f64 v[185:186], v[239:240], s[2:3], v[185:186]
	v_add_f64 v[146:147], v[146:147], v[193:194]
	v_mul_f64 v[193:194], v[4:5], s[46:47]
	v_add_f64 v[199:200], v[199:200], v[218:219]
	v_mul_f64 v[4:5], v[4:5], s[26:27]
	v_mul_f64 v[181:182], v[181:182], s[26:27]
	v_add_f64 v[197:198], v[197:198], v[227:228]
	v_add_f64 v[187:188], v[187:188], v[203:204]
	v_fma_f64 v[191:192], v[237:238], s[2:3], v[189:190]
	v_add_f64 v[185:186], v[185:186], v[207:208]
	v_add_f64 v[207:208], v[168:169], v[170:171]
	v_add_f64 v[168:169], v[168:169], -v[170:171]
	v_fma_f64 v[189:190], v[237:238], s[2:3], -v[189:190]
	v_fma_f64 v[195:196], v[239:240], s[38:39], -v[193:194]
	v_fma_f64 v[193:194], v[239:240], s[38:39], v[193:194]
	v_fma_f64 v[201:202], v[239:240], s[22:23], -v[4:5]
	v_fma_f64 v[203:204], v[237:238], s[22:23], v[181:182]
	v_fma_f64 v[4:5], v[239:240], s[22:23], v[4:5]
	v_fma_f64 v[181:182], v[237:238], s[22:23], -v[181:182]
	v_add_f64 v[239:240], v[160:161], -v[162:163]
	v_add_f64 v[237:238], v[164:165], -v[166:167]
	v_add_f64 v[191:192], v[191:192], v[205:206]
	v_add_f64 v[205:206], v[172:173], v[174:175]
	v_add_f64 v[172:173], v[172:173], -v[174:175]
	v_mul_f64 v[170:171], v[168:169], s[26:27]
	v_add_f64 v[189:190], v[189:190], v[209:210]
	v_add_f64 v[195:196], v[195:196], v[216:217]
	;; [unrolled: 1-line block ×8, first 2 shown]
	v_fma_f64 v[174:175], v[205:206], s[22:23], -v[170:171]
	v_fma_f64 v[170:171], v[205:206], s[22:23], v[170:171]
	v_add_f64 v[8:9], v[174:175], v[8:9]
	v_mul_f64 v[174:175], v[172:173], s[26:27]
	v_add_f64 v[2:3], v[170:171], v[2:3]
	v_fma_f64 v[170:171], v[207:208], s[22:23], -v[174:175]
	v_fma_f64 v[209:210], v[207:208], s[22:23], v[174:175]
	v_add_f64 v[6:7], v[170:171], v[6:7]
	v_mul_f64 v[170:171], v[168:169], s[54:55]
	v_add_f64 v[0:1], v[209:210], v[0:1]
	;; [unrolled: 5-line block ×4, first 2 shown]
	v_fma_f64 v[174:175], v[205:206], s[38:39], -v[170:171]
	v_add_f64 v[136:137], v[174:175], v[136:137]
	v_mul_f64 v[174:175], v[172:173], s[46:47]
	v_fma_f64 v[209:210], v[207:208], s[38:39], v[174:175]
	v_add_f64 v[209:210], v[209:210], v[140:141]
	v_fma_f64 v[140:141], v[205:206], s[38:39], v[170:171]
	v_add_f64 v[18:19], v[140:141], v[18:19]
	v_fma_f64 v[140:141], v[207:208], s[38:39], -v[174:175]
	v_add_f64 v[138:139], v[140:141], v[138:139]
	v_mul_f64 v[140:141], v[168:169], s[34:35]
	v_fma_f64 v[170:171], v[205:206], s[30:31], -v[140:141]
	v_fma_f64 v[140:141], v[205:206], s[30:31], v[140:141]
	v_add_f64 v[170:171], v[170:171], v[144:145]
	v_mul_f64 v[144:145], v[172:173], s[34:35]
	v_add_f64 v[218:219], v[140:141], v[142:143]
	v_fma_f64 v[140:141], v[207:208], s[30:31], -v[144:145]
	v_fma_f64 v[174:175], v[207:208], s[30:31], v[144:145]
	v_add_f64 v[221:222], v[140:141], v[146:147]
	v_mul_f64 v[140:141], v[168:169], s[20:21]
	v_add_f64 v[174:175], v[174:175], v[148:149]
	v_fma_f64 v[142:143], v[205:206], s[2:3], -v[140:141]
	v_fma_f64 v[140:141], v[205:206], s[2:3], v[140:141]
	v_add_f64 v[177:178], v[142:143], v[177:178]
	v_mul_f64 v[142:143], v[172:173], s[20:21]
	v_add_f64 v[223:224], v[140:141], v[150:151]
	v_fma_f64 v[140:141], v[207:208], s[2:3], -v[142:143]
	v_fma_f64 v[144:145], v[207:208], s[2:3], v[142:143]
	v_add_f64 v[179:180], v[140:141], v[179:180]
	v_mul_f64 v[140:141], v[168:169], s[52:53]
	v_add_f64 v[183:184], v[144:145], v[183:184]
	v_fma_f64 v[142:143], v[205:206], s[28:29], -v[140:141]
	v_fma_f64 v[140:141], v[205:206], s[28:29], v[140:141]
	v_add_f64 v[187:188], v[142:143], v[187:188]
	v_mul_f64 v[142:143], v[172:173], s[52:53]
	v_add_f64 v[185:186], v[140:141], v[185:186]
	v_fma_f64 v[140:141], v[207:208], s[28:29], -v[142:143]
	v_fma_f64 v[144:145], v[207:208], s[28:29], v[142:143]
	v_add_f64 v[189:190], v[140:141], v[189:190]
	v_mul_f64 v[140:141], v[168:169], s[44:45]
	v_add_f64 v[191:192], v[144:145], v[191:192]
	v_fma_f64 v[142:143], v[205:206], s[42:43], -v[140:141]
	v_fma_f64 v[140:141], v[205:206], s[42:43], v[140:141]
	v_add_f64 v[225:226], v[142:143], v[195:196]
	v_mul_f64 v[142:143], v[172:173], s[44:45]
	v_add_f64 v[229:230], v[140:141], v[193:194]
	v_fma_f64 v[140:141], v[207:208], s[42:43], -v[142:143]
	v_fma_f64 v[144:145], v[207:208], s[42:43], v[142:143]
	v_add_f64 v[231:232], v[140:141], v[197:198]
	v_mul_f64 v[140:141], v[168:169], s[24:25]
	v_add_f64 v[227:228], v[144:145], v[199:200]
	v_fma_f64 v[142:143], v[205:206], s[18:19], -v[140:141]
	v_fma_f64 v[140:141], v[205:206], s[18:19], v[140:141]
	v_add_f64 v[233:234], v[142:143], v[201:202]
	v_mul_f64 v[142:143], v[172:173], s[24:25]
	v_add_f64 v[4:5], v[140:141], v[4:5]
	v_fma_f64 v[144:145], v[207:208], s[18:19], v[142:143]
	v_fma_f64 v[140:141], v[207:208], s[18:19], -v[142:143]
	v_add_f64 v[172:173], v[144:145], v[203:204]
	v_add_f64 v[203:204], v[140:141], v[181:182]
	;; [unrolled: 1-line block ×3, first 2 shown]
	v_mul_f64 v[140:141], v[239:240], s[34:35]
	v_fma_f64 v[142:143], v[181:182], s[30:31], -v[140:141]
	v_add_f64 v[8:9], v[142:143], v[8:9]
	v_mul_f64 v[142:143], v[237:238], s[34:35]
	v_fma_f64 v[144:145], v[235:236], s[30:31], v[142:143]
	v_add_f64 v[241:242], v[144:145], v[0:1]
	v_fma_f64 v[0:1], v[181:182], s[30:31], v[140:141]
	v_add_f64 v[244:245], v[0:1], v[2:3]
	v_fma_f64 v[0:1], v[235:236], s[30:31], -v[142:143]
	v_add_f64 v[6:7], v[0:1], v[6:7]
	v_mul_f64 v[0:1], v[239:240], s[24:25]
	v_fma_f64 v[2:3], v[181:182], s[18:19], -v[0:1]
	v_fma_f64 v[0:1], v[181:182], s[18:19], v[0:1]
	v_add_f64 v[140:141], v[2:3], v[12:13]
	v_mul_f64 v[2:3], v[237:238], s[24:25]
	v_add_f64 v[144:145], v[0:1], v[10:11]
	v_fma_f64 v[0:1], v[235:236], s[18:19], -v[2:3]
	v_fma_f64 v[12:13], v[235:236], s[18:19], v[2:3]
	v_add_f64 v[146:147], v[0:1], v[14:15]
	v_mul_f64 v[0:1], v[239:240], s[48:49]
	v_add_f64 v[142:143], v[12:13], v[16:17]
	v_mul_f64 v[12:13], v[237:238], s[16:17]
	v_fma_f64 v[2:3], v[181:182], s[2:3], -v[0:1]
	v_fma_f64 v[0:1], v[181:182], s[2:3], v[0:1]
	v_add_f64 v[148:149], v[2:3], v[136:137]
	v_mul_f64 v[2:3], v[237:238], s[48:49]
	v_add_f64 v[216:217], v[0:1], v[18:19]
	v_fma_f64 v[10:11], v[235:236], s[2:3], v[2:3]
	v_fma_f64 v[0:1], v[235:236], s[2:3], -v[2:3]
	v_add_f64 v[150:151], v[10:11], v[209:210]
	v_add_f64 v[209:210], v[0:1], v[138:139]
	v_mul_f64 v[0:1], v[239:240], s[50:51]
	v_fma_f64 v[2:3], v[181:182], s[22:23], -v[0:1]
	v_fma_f64 v[0:1], v[181:182], s[22:23], v[0:1]
	v_add_f64 v[207:208], v[2:3], v[170:171]
	v_mul_f64 v[2:3], v[237:238], s[50:51]
	v_add_f64 v[160:161], v[0:1], v[218:219]
	v_fma_f64 v[0:1], v[235:236], s[22:23], -v[2:3]
	v_fma_f64 v[10:11], v[235:236], s[22:23], v[2:3]
	v_add_f64 v[162:163], v[0:1], v[221:222]
	v_mul_f64 v[0:1], v[239:240], s[46:47]
	v_add_f64 v[205:206], v[10:11], v[174:175]
	;; [unrolled: 5-line block ×4, first 2 shown]
	v_add_f64 v[183:184], v[156:157], v[158:159]
	v_add_f64 v[179:180], v[152:153], v[154:155]
	v_fma_f64 v[2:3], v[181:182], s[42:43], -v[0:1]
	v_fma_f64 v[0:1], v[181:182], s[42:43], v[0:1]
	v_add_f64 v[199:200], v[2:3], v[187:188]
	v_mul_f64 v[2:3], v[237:238], s[44:45]
	v_add_f64 v[197:198], v[0:1], v[185:186]
	v_add_f64 v[185:186], v[156:157], -v[158:159]
	v_fma_f64 v[0:1], v[235:236], s[42:43], -v[2:3]
	v_fma_f64 v[10:11], v[235:236], s[42:43], v[2:3]
	v_add_f64 v[195:196], v[0:1], v[189:190]
	v_mul_f64 v[0:1], v[239:240], s[36:37]
	v_add_f64 v[201:202], v[10:11], v[191:192]
	v_fma_f64 v[2:3], v[181:182], s[28:29], -v[0:1]
	v_fma_f64 v[0:1], v[181:182], s[28:29], v[0:1]
	v_add_f64 v[193:194], v[2:3], v[225:226]
	v_mul_f64 v[2:3], v[237:238], s[36:37]
	v_add_f64 v[189:190], v[0:1], v[229:230]
	v_fma_f64 v[10:11], v[235:236], s[28:29], v[2:3]
	v_fma_f64 v[0:1], v[235:236], s[28:29], -v[2:3]
	v_add_f64 v[191:192], v[10:11], v[227:228]
	v_mul_f64 v[10:11], v[239:240], s[16:17]
	v_add_f64 v[187:188], v[0:1], v[231:232]
	v_fma_f64 v[0:1], v[181:182], s[14:15], -v[10:11]
	v_fma_f64 v[10:11], v[181:182], s[14:15], v[10:11]
	v_add_f64 v[2:3], v[0:1], v[233:234]
	v_add_f64 v[181:182], v[10:11], v[4:5]
	v_fma_f64 v[4:5], v[235:236], s[14:15], -v[12:13]
	v_fma_f64 v[0:1], v[235:236], s[14:15], v[12:13]
	v_add_f64 v[177:178], v[4:5], v[203:204]
	v_add_f64 v[203:204], v[152:153], -v[154:155]
	v_add_f64 v[0:1], v[0:1], v[172:173]
	v_mul_f64 v[4:5], v[203:204], s[44:45]
	v_fma_f64 v[10:11], v[183:184], s[42:43], -v[4:5]
	v_fma_f64 v[4:5], v[183:184], s[42:43], v[4:5]
	v_add_f64 v[136:137], v[10:11], v[8:9]
	v_mul_f64 v[8:9], v[185:186], s[44:45]
	v_add_f64 v[172:173], v[4:5], v[244:245]
	v_fma_f64 v[4:5], v[179:180], s[42:43], -v[8:9]
	v_fma_f64 v[10:11], v[179:180], s[42:43], v[8:9]
	v_add_f64 v[174:175], v[4:5], v[6:7]
	v_mul_f64 v[4:5], v[203:204], s[40:41]
	v_add_f64 v[138:139], v[10:11], v[241:242]
	;; [unrolled: 5-line block ×13, first 2 shown]
	v_fma_f64 v[8:9], v[179:180], s[14:15], v[6:7]
	v_fma_f64 v[4:5], v[179:180], s[14:15], -v[6:7]
	v_add_f64 v[195:196], v[8:9], v[191:192]
	v_add_f64 v[191:192], v[4:5], v[187:188]
	v_mul_f64 v[4:5], v[203:204], s[20:21]
	v_fma_f64 v[6:7], v[183:184], s[2:3], -v[4:5]
	v_add_f64 v[216:217], v[6:7], v[2:3]
	v_mul_f64 v[2:3], v[185:186], s[20:21]
	v_fma_f64 v[6:7], v[179:180], s[2:3], v[2:3]
	v_fma_f64 v[2:3], v[179:180], s[2:3], -v[2:3]
	v_add_f64 v[218:219], v[6:7], v[0:1]
	v_fma_f64 v[0:1], v[183:184], s[2:3], v[4:5]
	v_cndmask_b32_e64 v4, 0, 0x121, s0
	v_add_f64 v[2:3], v[2:3], v[177:178]
	v_add_nc_u32_e32 v4, v176, v4
	v_lshl_add_u32 v244, v4, 4, v254
	v_add_f64 v[0:1], v[0:1], v[181:182]
	ds_write_b128 v244, v[132:135]
	ds_write_b128 v244, v[136:139] offset:272
	ds_write_b128 v244, v[140:143] offset:544
	;; [unrolled: 1-line block ×16, first 2 shown]
	s_waitcnt lgkmcnt(0)
	s_barrier
	buffer_gl0_inv
	ds_read_b128 v[200:203], v255
	ds_read_b128 v[148:151], v255 offset:4624
	ds_read_b128 v[196:199], v255 offset:544
	;; [unrolled: 1-line block ×15, first 2 shown]
                                        ; implicit-def: $vgpr204_vgpr205
	s_and_saveexec_b32 s0, vcc_lo
	s_cbranch_execz .LBB0_3
; %bb.2:
	ds_read_b128 v[172:175], v255 offset:4352
	ds_read_b128 v[204:207], v255 offset:8976
	v_mov_b32_e32 v215, v213
	v_mov_b32_e32 v214, v212
.LBB0_3:
	s_or_b32 exec_lo, exec_lo, s0
	buffer_load_dword v21, off, s[64:67], 0 ; 4-byte Folded Reload
	v_lshlrev_b32_e32 v3, 4, v212
	s_waitcnt vmcnt(0)
	v_lshlrev_b32_e32 v0, 4, v21
	v_lshl_add_u32 v225, v21, 4, v254
	v_add_co_u32 v17, s0, s10, v0
	v_add_co_ci_u32_e64 v18, null, s11, 0, s0
	v_add_co_u32 v1, s0, 0x1000, v17
	v_add_co_ci_u32_e64 v2, s0, 0, v18, s0
	v_add_co_u32 v17, s0, 0x1800, v17
	s_clause 0x1
	global_load_dwordx4 v[140:143], v3, s[10:11]
	global_load_dwordx4 v[136:139], v[1:2], off offset:800
	v_add_co_ci_u32_e64 v18, s0, 0, v18, s0
	s_waitcnt vmcnt(1) lgkmcnt(14)
	v_mul_f64 v[3:4], v[150:151], v[142:143]
	v_mul_f64 v[5:6], v[148:149], v[142:143]
	s_waitcnt vmcnt(0) lgkmcnt(12)
	v_mul_f64 v[7:8], v[146:147], v[138:139]
	v_mul_f64 v[9:10], v[144:145], v[138:139]
	v_fma_f64 v[3:4], v[148:149], v[140:141], -v[3:4]
	v_fma_f64 v[5:6], v[150:151], v[140:141], v[5:6]
	v_fma_f64 v[7:8], v[144:145], v[136:137], -v[7:8]
	v_fma_f64 v[9:10], v[146:147], v[136:137], v[9:10]
	s_clause 0x1
	global_load_dwordx4 v[144:147], v[1:2], off offset:1344
	global_load_dwordx4 v[148:151], v[1:2], off offset:1888
	s_waitcnt vmcnt(1) lgkmcnt(10)
	v_mul_f64 v[1:2], v[158:159], v[146:147]
	v_mul_f64 v[11:12], v[156:157], v[146:147]
	s_waitcnt vmcnt(0) lgkmcnt(8)
	v_mul_f64 v[13:14], v[154:155], v[150:151]
	v_mul_f64 v[15:16], v[152:153], v[150:151]
	v_fma_f64 v[1:2], v[156:157], v[144:145], -v[1:2]
	v_fma_f64 v[11:12], v[158:159], v[144:145], v[11:12]
	v_fma_f64 v[13:14], v[152:153], v[148:149], -v[13:14]
	v_fma_f64 v[15:16], v[154:155], v[148:149], v[15:16]
	s_clause 0x1
	global_load_dwordx4 v[152:155], v[17:18], off offset:384
	global_load_dwordx4 v[156:159], v[17:18], off offset:928
	s_waitcnt vmcnt(1) lgkmcnt(6)
	v_mul_f64 v[212:213], v[166:167], v[154:155]
	v_fma_f64 v[216:217], v[164:165], v[152:153], -v[212:213]
	v_mul_f64 v[164:165], v[164:165], v[154:155]
	v_add_f64 v[212:213], v[188:189], -v[13:14]
	v_add_f64 v[216:217], v[184:185], -v[216:217]
	v_fma_f64 v[218:219], v[166:167], v[152:153], v[164:165]
	s_waitcnt vmcnt(0) lgkmcnt(4)
	v_mul_f64 v[164:165], v[162:163], v[158:159]
	v_fma_f64 v[188:189], v[188:189], 2.0, -v[212:213]
	v_fma_f64 v[184:185], v[184:185], 2.0, -v[216:217]
	v_add_f64 v[218:219], v[186:187], -v[218:219]
	v_fma_f64 v[221:222], v[160:161], v[156:157], -v[164:165]
	v_mul_f64 v[160:161], v[160:161], v[158:159]
	v_fma_f64 v[186:187], v[186:187], 2.0, -v[218:219]
	v_add_f64 v[226:227], v[180:181], -v[221:222]
	v_fma_f64 v[223:224], v[162:163], v[156:157], v[160:161]
	s_clause 0x1
	global_load_dwordx4 v[160:163], v[17:18], off offset:1472
	global_load_dwordx4 v[164:167], v[17:18], off offset:2016
	v_fma_f64 v[180:181], v[180:181], 2.0, -v[226:227]
	v_add_f64 v[228:229], v[182:183], -v[223:224]
	v_fma_f64 v[182:183], v[182:183], 2.0, -v[228:229]
	s_waitcnt vmcnt(1) lgkmcnt(2)
	v_mul_f64 v[17:18], v[210:211], v[162:163]
	v_fma_f64 v[17:18], v[208:209], v[160:161], -v[17:18]
	v_mul_f64 v[208:209], v[208:209], v[162:163]
	v_add_f64 v[230:231], v[176:177], -v[17:18]
	v_fma_f64 v[232:233], v[210:211], v[160:161], v[208:209]
	s_waitcnt vmcnt(0) lgkmcnt(0)
	v_mul_f64 v[208:209], v[134:135], v[166:167]
	v_add_f64 v[210:211], v[194:195], -v[11:12]
	v_fma_f64 v[176:177], v[176:177], 2.0, -v[230:231]
	v_add_f64 v[232:233], v[178:179], -v[232:233]
	v_fma_f64 v[234:235], v[132:133], v[164:165], -v[208:209]
	v_mul_f64 v[132:133], v[132:133], v[166:167]
	v_fma_f64 v[194:195], v[194:195], 2.0, -v[210:211]
	v_fma_f64 v[178:179], v[178:179], 2.0, -v[232:233]
	v_add_f64 v[234:235], v[168:169], -v[234:235]
	v_fma_f64 v[236:237], v[134:135], v[164:165], v[132:133]
	v_lshlrev_b64 v[132:133], 4, v[214:215]
	v_add_f64 v[214:215], v[190:191], -v[15:16]
	v_add_co_u32 v19, s0, s10, v132
	v_add_co_ci_u32_e64 v20, s0, s11, v133, s0
	v_add_co_u32 v132, s0, 0x1000, v19
	v_add_co_ci_u32_e64 v133, s0, 0, v20, s0
	global_load_dwordx4 v[132:135], v[132:133], off offset:256
	v_fma_f64 v[238:239], v[168:169], 2.0, -v[234:235]
	v_add_f64 v[236:237], v[170:171], -v[236:237]
	v_fma_f64 v[190:191], v[190:191], 2.0, -v[214:215]
	v_fma_f64 v[240:241], v[170:171], 2.0, -v[236:237]
	s_waitcnt vmcnt(0)
	v_mul_f64 v[208:209], v[206:207], v[134:135]
	v_fma_f64 v[245:246], v[204:205], v[132:133], -v[208:209]
	v_mul_f64 v[204:205], v[204:205], v[134:135]
	v_add_f64 v[208:209], v[192:193], -v[1:2]
	v_add_f64 v[168:169], v[172:173], -v[245:246]
	v_fma_f64 v[247:248], v[206:207], v[132:133], v[204:205]
	v_add_f64 v[204:205], v[200:201], -v[3:4]
	v_add_f64 v[206:207], v[202:203], -v[5:6]
	v_fma_f64 v[192:193], v[192:193], 2.0, -v[208:209]
	v_add_f64 v[170:171], v[174:175], -v[247:248]
	v_fma_f64 v[200:201], v[200:201], 2.0, -v[204:205]
	v_fma_f64 v[202:203], v[202:203], 2.0, -v[206:207]
	ds_write_b128 v225, v[204:207] offset:4624
	v_add_f64 v[204:205], v[196:197], -v[7:8]
	v_add_f64 v[206:207], v[198:199], -v[9:10]
	v_fma_f64 v[196:197], v[196:197], 2.0, -v[204:205]
	v_fma_f64 v[198:199], v[198:199], 2.0, -v[206:207]
	ds_write_b128 v255, v[200:203]
	ds_write_b128 v255, v[196:199] offset:544
	ds_write_b128 v225, v[204:207] offset:5168
	ds_write_b128 v255, v[192:195] offset:1088
	ds_write_b128 v225, v[208:211] offset:5712
	ds_write_b128 v255, v[188:191] offset:1632
	ds_write_b128 v225, v[212:215] offset:6256
	ds_write_b128 v255, v[184:187] offset:2176
	ds_write_b128 v225, v[216:219] offset:6800
	ds_write_b128 v255, v[180:183] offset:2720
	ds_write_b128 v225, v[226:229] offset:7344
	ds_write_b128 v255, v[176:179] offset:3264
	ds_write_b128 v255, v[230:233] offset:7888
	ds_write_b128 v255, v[238:241] offset:3808
	ds_write_b128 v255, v[234:237] offset:8432
	s_and_saveexec_b32 s0, vcc_lo
	s_cbranch_execz .LBB0_5
; %bb.4:
	v_fma_f64 v[174:175], v[174:175], 2.0, -v[170:171]
	v_fma_f64 v[172:173], v[172:173], 2.0, -v[168:169]
	ds_write_b128 v255, v[172:175] offset:4352
	ds_write_b128 v225, v[168:171] offset:8976
.LBB0_5:
	s_or_b32 exec_lo, exec_lo, s0
	v_add_co_u32 v0, s0, s8, v0
	v_add_co_ci_u32_e64 v1, null, s9, 0, s0
	s_waitcnt lgkmcnt(0)
	v_add_co_u32 v2, s0, 0x2420, v0
	v_add_co_ci_u32_e64 v3, s0, 0, v1, s0
	v_add_co_u32 v4, s0, 0x2000, v0
	v_add_co_ci_u32_e64 v5, s0, 0, v1, s0
	s_barrier
	buffer_gl0_inv
	ds_read_b128 v[172:175], v255
	global_load_dwordx4 v[176:179], v[4:5], off offset:1056
	s_mov_b32 s8, 0xeb564b22
	s_mov_b32 s9, 0xbfefdd0d
	;; [unrolled: 1-line block ×41, first 2 shown]
	v_add_nc_u32_e32 v226, 0xcc0, v255
	s_waitcnt vmcnt(0) lgkmcnt(0)
	v_mul_f64 v[4:5], v[174:175], v[178:179]
	v_fma_f64 v[180:181], v[172:173], v[176:177], -v[4:5]
	v_mul_f64 v[4:5], v[172:173], v[178:179]
	v_fma_f64 v[182:183], v[174:175], v[176:177], v[4:5]
	global_load_dwordx4 v[176:179], v[2:3], off offset:544
	ds_read_b128 v[172:175], v255 offset:544
	ds_write_b128 v255, v[180:183]
	s_waitcnt vmcnt(0) lgkmcnt(1)
	v_mul_f64 v[4:5], v[174:175], v[178:179]
	v_fma_f64 v[180:181], v[172:173], v[176:177], -v[4:5]
	v_mul_f64 v[4:5], v[172:173], v[178:179]
	v_fma_f64 v[182:183], v[174:175], v[176:177], v[4:5]
	global_load_dwordx4 v[176:179], v[2:3], off offset:1088
	ds_read_b128 v[172:175], v255 offset:1088
	ds_write_b128 v255, v[180:183] offset:544
	s_waitcnt vmcnt(0) lgkmcnt(1)
	v_mul_f64 v[4:5], v[174:175], v[178:179]
	v_fma_f64 v[180:181], v[172:173], v[176:177], -v[4:5]
	v_mul_f64 v[4:5], v[172:173], v[178:179]
	v_fma_f64 v[182:183], v[174:175], v[176:177], v[4:5]
	global_load_dwordx4 v[176:179], v[2:3], off offset:1632
	ds_read_b128 v[172:175], v255 offset:1632
	ds_write_b128 v255, v[180:183] offset:1088
	s_waitcnt vmcnt(0) lgkmcnt(1)
	v_mul_f64 v[2:3], v[174:175], v[178:179]
	v_fma_f64 v[180:181], v[172:173], v[176:177], -v[2:3]
	v_mul_f64 v[2:3], v[172:173], v[178:179]
	v_fma_f64 v[182:183], v[174:175], v[176:177], v[2:3]
	v_add_co_u32 v2, s0, 0x2800, v0
	v_add_co_ci_u32_e64 v3, s0, 0, v1, s0
	ds_read_b128 v[172:175], v255 offset:2176
	global_load_dwordx4 v[176:179], v[2:3], off offset:1184
	ds_write_b128 v255, v[180:183] offset:1632
	s_waitcnt vmcnt(0) lgkmcnt(1)
	v_mul_f64 v[4:5], v[174:175], v[178:179]
	v_fma_f64 v[180:181], v[172:173], v[176:177], -v[4:5]
	v_mul_f64 v[4:5], v[172:173], v[178:179]
	v_fma_f64 v[182:183], v[174:175], v[176:177], v[4:5]
	global_load_dwordx4 v[176:179], v[2:3], off offset:1728
	ds_read_b128 v[172:175], v255 offset:2720
	ds_write_b128 v255, v[180:183] offset:2176
	s_waitcnt vmcnt(0) lgkmcnt(1)
	v_mul_f64 v[2:3], v[174:175], v[178:179]
	v_fma_f64 v[180:181], v[172:173], v[176:177], -v[2:3]
	v_mul_f64 v[2:3], v[172:173], v[178:179]
	v_fma_f64 v[182:183], v[174:175], v[176:177], v[2:3]
	v_add_co_u32 v2, s0, 0x3000, v0
	v_add_co_ci_u32_e64 v3, s0, 0, v1, s0
	ds_read_b128 v[172:175], v255 offset:3264
	global_load_dwordx4 v[176:179], v[2:3], off offset:224
	ds_write_b128 v255, v[180:183] offset:2720
	s_waitcnt vmcnt(0) lgkmcnt(1)
	v_mul_f64 v[4:5], v[174:175], v[178:179]
	v_fma_f64 v[180:181], v[172:173], v[176:177], -v[4:5]
	v_mul_f64 v[4:5], v[172:173], v[178:179]
	v_fma_f64 v[182:183], v[174:175], v[176:177], v[4:5]
	global_load_dwordx4 v[176:179], v[2:3], off offset:768
	ds_read_b128 v[172:175], v255 offset:3808
	ds_write_b128 v255, v[180:183] offset:3264
	s_waitcnt vmcnt(0) lgkmcnt(1)
	v_mul_f64 v[4:5], v[174:175], v[178:179]
	v_fma_f64 v[180:181], v[172:173], v[176:177], -v[4:5]
	v_mul_f64 v[4:5], v[172:173], v[178:179]
	v_fma_f64 v[182:183], v[174:175], v[176:177], v[4:5]
	global_load_dwordx4 v[176:179], v[2:3], off offset:1312
	ds_read_b128 v[172:175], v255 offset:4352
	;; [unrolled: 8-line block ×3, first 2 shown]
	ds_write_b128 v255, v[180:183] offset:4352
	s_waitcnt vmcnt(0) lgkmcnt(1)
	v_mul_f64 v[2:3], v[174:175], v[178:179]
	v_fma_f64 v[180:181], v[172:173], v[176:177], -v[2:3]
	v_mul_f64 v[2:3], v[172:173], v[178:179]
	v_fma_f64 v[182:183], v[174:175], v[176:177], v[2:3]
	v_add_co_u32 v2, s0, 0x3800, v0
	v_add_co_ci_u32_e64 v3, s0, 0, v1, s0
	ds_read_b128 v[172:175], v255 offset:5440
	global_load_dwordx4 v[176:179], v[2:3], off offset:352
	ds_write_b128 v255, v[180:183] offset:4896
	s_waitcnt vmcnt(0) lgkmcnt(1)
	v_mul_f64 v[4:5], v[174:175], v[178:179]
	v_fma_f64 v[180:181], v[172:173], v[176:177], -v[4:5]
	v_mul_f64 v[4:5], v[172:173], v[178:179]
	v_fma_f64 v[182:183], v[174:175], v[176:177], v[4:5]
	global_load_dwordx4 v[176:179], v[2:3], off offset:896
	ds_read_b128 v[172:175], v255 offset:5984
	ds_write_b128 v255, v[180:183] offset:5440
	s_waitcnt vmcnt(0) lgkmcnt(1)
	v_mul_f64 v[4:5], v[174:175], v[178:179]
	v_fma_f64 v[180:181], v[172:173], v[176:177], -v[4:5]
	v_mul_f64 v[4:5], v[172:173], v[178:179]
	v_fma_f64 v[182:183], v[174:175], v[176:177], v[4:5]
	global_load_dwordx4 v[176:179], v[2:3], off offset:1440
	ds_read_b128 v[172:175], v255 offset:6528
	;; [unrolled: 8-line block ×3, first 2 shown]
	v_add_co_u32 v4, s0, 0x4000, v0
	v_add_co_ci_u32_e64 v5, s0, 0, v1, s0
	s_mov_b32 s0, s8
	ds_write_b128 v255, v[180:183] offset:6528
	s_waitcnt vmcnt(0) lgkmcnt(1)
	v_mul_f64 v[2:3], v[174:175], v[178:179]
	v_fma_f64 v[180:181], v[172:173], v[176:177], -v[2:3]
	v_mul_f64 v[2:3], v[172:173], v[178:179]
	v_fma_f64 v[182:183], v[174:175], v[176:177], v[2:3]
	global_load_dwordx4 v[0:3], v[4:5], off offset:480
	ds_read_b128 v[172:175], v255 offset:7616
	ds_write_b128 v255, v[180:183] offset:7072
	s_waitcnt vmcnt(0) lgkmcnt(1)
	v_mul_f64 v[6:7], v[174:175], v[2:3]
	v_mul_f64 v[2:3], v[172:173], v[2:3]
	v_fma_f64 v[176:177], v[172:173], v[0:1], -v[6:7]
	v_fma_f64 v[178:179], v[174:175], v[0:1], v[2:3]
	global_load_dwordx4 v[172:175], v[4:5], off offset:1024
	ds_read_b128 v[0:3], v255 offset:8160
	ds_write_b128 v255, v[176:179] offset:7616
	s_waitcnt vmcnt(0) lgkmcnt(1)
	v_mul_f64 v[6:7], v[2:3], v[174:175]
	v_fma_f64 v[176:177], v[0:1], v[172:173], -v[6:7]
	v_mul_f64 v[0:1], v[0:1], v[174:175]
	v_fma_f64 v[178:179], v[2:3], v[172:173], v[0:1]
	global_load_dwordx4 v[172:175], v[4:5], off offset:1568
	ds_read_b128 v[0:3], v255 offset:8704
	ds_write_b128 v255, v[176:179] offset:8160
	s_waitcnt vmcnt(0) lgkmcnt(1)
	v_mul_f64 v[4:5], v[2:3], v[174:175]
	v_fma_f64 v[176:177], v[0:1], v[172:173], -v[4:5]
	v_mul_f64 v[0:1], v[0:1], v[174:175]
	v_fma_f64 v[178:179], v[2:3], v[172:173], v[0:1]
	ds_write_b128 v255, v[176:179] offset:8704
	s_waitcnt lgkmcnt(0)
	s_barrier
	buffer_gl0_inv
	ds_read_b128 v[0:3], v255
	ds_read_b128 v[216:219], v255 offset:544
	ds_read_b128 v[227:230], v255 offset:1088
	;; [unrolled: 1-line block ×16, first 2 shown]
	s_waitcnt lgkmcnt(0)
	s_barrier
	buffer_gl0_inv
	v_add_f64 v[4:5], v[0:1], v[216:217]
	v_add_f64 v[6:7], v[2:3], v[218:219]
	v_add_f64 v[10:11], v[218:219], -v[247:248]
	v_add_f64 v[8:9], v[216:217], -v[245:246]
	v_add_f64 v[4:5], v[4:5], v[227:228]
	v_add_f64 v[6:7], v[6:7], v[229:230]
	v_mul_f64 v[253:254], v[10:11], s[8:9]
	v_mul_f64 v[12:13], v[10:11], s[48:49]
	v_add_f64 v[4:5], v[4:5], v[231:232]
	v_add_f64 v[6:7], v[6:7], v[233:234]
	v_add_f64 v[4:5], v[4:5], v[208:209]
	v_add_f64 v[6:7], v[6:7], v[210:211]
	v_add_f64 v[4:5], v[4:5], v[200:201]
	v_add_f64 v[6:7], v[6:7], v[202:203]
	v_add_f64 v[4:5], v[4:5], v[192:193]
	v_add_f64 v[6:7], v[6:7], v[194:195]
	v_add_f64 v[4:5], v[4:5], v[184:185]
	v_add_f64 v[6:7], v[6:7], v[186:187]
	v_add_f64 v[4:5], v[4:5], v[176:177]
	v_add_f64 v[6:7], v[6:7], v[178:179]
	v_add_f64 v[4:5], v[4:5], v[180:181]
	v_add_f64 v[6:7], v[6:7], v[182:183]
	v_add_f64 v[4:5], v[4:5], v[188:189]
	v_add_f64 v[6:7], v[6:7], v[190:191]
	v_add_f64 v[4:5], v[4:5], v[196:197]
	v_add_f64 v[6:7], v[6:7], v[198:199]
	v_add_f64 v[4:5], v[4:5], v[204:205]
	v_add_f64 v[6:7], v[6:7], v[206:207]
	v_add_f64 v[4:5], v[4:5], v[212:213]
	v_add_f64 v[6:7], v[6:7], v[214:215]
	v_add_f64 v[4:5], v[4:5], v[235:236]
	v_add_f64 v[6:7], v[6:7], v[237:238]
	v_add_f64 v[4:5], v[4:5], v[239:240]
	v_add_f64 v[6:7], v[6:7], v[241:242]
	v_add_f64 v[172:173], v[4:5], v[245:246]
	v_add_f64 v[4:5], v[216:217], v[245:246]
	v_add_f64 v[174:175], v[6:7], v[247:248]
	v_add_f64 v[6:7], v[218:219], v[247:248]
	v_mul_f64 v[216:217], v[10:11], s[36:37]
	v_mul_f64 v[245:246], v[10:11], s[22:23]
	v_fma_f64 v[20:21], v[4:5], s[2:3], v[253:254]
	v_fma_f64 v[26:27], v[4:5], s[2:3], -v[253:254]
	v_mul_f64 v[253:254], v[10:11], s[10:11]
	v_fma_f64 v[14:15], v[4:5], s[44:45], v[12:13]
	v_mul_f64 v[16:17], v[6:7], s[44:45]
	v_fma_f64 v[12:13], v[4:5], s[44:45], -v[12:13]
	v_fma_f64 v[218:219], v[4:5], s[30:31], v[216:217]
	v_mul_f64 v[221:222], v[6:7], s[30:31]
	v_fma_f64 v[216:217], v[4:5], s[30:31], -v[216:217]
	;; [unrolled: 3-line block ×3, first 2 shown]
	v_mul_f64 v[22:23], v[6:7], s[2:3]
	v_mul_f64 v[30:31], v[6:7], s[14:15]
	;; [unrolled: 1-line block ×5, first 2 shown]
	v_add_f64 v[20:21], v[0:1], v[20:21]
	v_add_f64 v[26:27], v[0:1], v[26:27]
	v_fma_f64 v[28:29], v[4:5], s[14:15], v[253:254]
	v_fma_f64 v[34:35], v[4:5], s[14:15], -v[253:254]
	v_mul_f64 v[253:254], v[10:11], s[24:25]
	v_add_f64 v[14:15], v[0:1], v[14:15]
	v_fma_f64 v[18:19], v[8:9], s[46:47], v[16:17]
	v_add_f64 v[12:13], v[0:1], v[12:13]
	v_fma_f64 v[16:17], v[8:9], s[48:49], v[16:17]
	;; [unrolled: 2-line block ×6, first 2 shown]
	v_fma_f64 v[24:25], v[8:9], s[0:1], v[22:23]
	v_fma_f64 v[22:23], v[8:9], s[8:9], v[22:23]
	;; [unrolled: 1-line block ×7, first 2 shown]
	v_add_f64 v[28:29], v[0:1], v[28:29]
	v_add_f64 v[34:35], v[0:1], v[34:35]
	v_fma_f64 v[36:37], v[4:5], s[26:27], v[253:254]
	v_fma_f64 v[42:43], v[4:5], s[26:27], -v[253:254]
	v_mul_f64 v[253:254], v[10:11], s[38:39]
	v_mul_f64 v[10:11], v[10:11], s[50:51]
	v_fma_f64 v[46:47], v[8:9], s[38:39], v[46:47]
	v_fma_f64 v[52:53], v[8:9], s[54:55], v[6:7]
	v_add_f64 v[18:19], v[2:3], v[18:19]
	v_add_f64 v[16:17], v[2:3], v[16:17]
	;; [unrolled: 1-line block ×15, first 2 shown]
	v_fma_f64 v[44:45], v[4:5], s[40:41], v[253:254]
	v_fma_f64 v[50:51], v[4:5], s[40:41], -v[253:254]
	v_fma_f64 v[253:254], v[4:5], s[52:53], v[10:11]
	v_fma_f64 v[4:5], v[4:5], s[52:53], -v[10:11]
	v_add_f64 v[10:11], v[229:230], -v[241:242]
	v_add_f64 v[46:47], v[2:3], v[46:47]
	v_add_f64 v[52:53], v[2:3], v[52:53]
	;; [unrolled: 1-line block ×6, first 2 shown]
	v_fma_f64 v[4:5], v[8:9], s[50:51], v[6:7]
	v_mul_f64 v[54:55], v[10:11], s[36:37]
	v_add_f64 v[6:7], v[229:230], v[241:242]
	v_add_f64 v[8:9], v[227:228], -v[239:240]
	v_mul_f64 v[241:242], v[10:11], s[50:51]
	v_add_f64 v[2:3], v[2:3], v[4:5]
	v_add_f64 v[4:5], v[227:228], v[239:240]
	v_fma_f64 v[227:228], v[4:5], s[30:31], v[54:55]
	v_fma_f64 v[54:55], v[4:5], s[30:31], -v[54:55]
	v_add_f64 v[14:15], v[227:228], v[14:15]
	v_mul_f64 v[227:228], v[6:7], s[30:31]
	v_add_f64 v[12:13], v[54:55], v[12:13]
	v_fma_f64 v[54:55], v[8:9], s[36:37], v[227:228]
	v_fma_f64 v[229:230], v[8:9], s[34:35], v[227:228]
	v_add_f64 v[16:17], v[54:55], v[16:17]
	v_mul_f64 v[54:55], v[10:11], s[8:9]
	v_add_f64 v[18:19], v[229:230], v[18:19]
	v_fma_f64 v[227:228], v[4:5], s[2:3], v[54:55]
	v_fma_f64 v[54:55], v[4:5], s[2:3], -v[54:55]
	v_add_f64 v[218:219], v[227:228], v[218:219]
	v_mul_f64 v[227:228], v[6:7], s[2:3]
	v_add_f64 v[54:55], v[54:55], v[216:217]
	v_fma_f64 v[216:217], v[8:9], s[8:9], v[227:228]
	v_fma_f64 v[229:230], v[8:9], s[0:1], v[227:228]
	v_add_f64 v[216:217], v[216:217], v[221:222]
	v_mul_f64 v[221:222], v[10:11], s[24:25]
	v_add_f64 v[223:224], v[229:230], v[223:224]
	v_mul_f64 v[229:230], v[6:7], s[26:27]
	v_fma_f64 v[227:228], v[4:5], s[26:27], v[221:222]
	v_fma_f64 v[221:222], v[4:5], s[26:27], -v[221:222]
	v_fma_f64 v[239:240], v[8:9], s[28:29], v[229:230]
	v_fma_f64 v[229:230], v[8:9], s[24:25], v[229:230]
	v_add_f64 v[227:228], v[227:228], v[247:248]
	v_add_f64 v[221:222], v[221:222], v[245:246]
	v_fma_f64 v[245:246], v[4:5], s[52:53], v[241:242]
	v_fma_f64 v[241:242], v[4:5], s[52:53], -v[241:242]
	v_add_f64 v[229:230], v[229:230], v[249:250]
	v_add_f64 v[239:240], v[239:240], v[251:252]
	;; [unrolled: 1-line block ×3, first 2 shown]
	v_add_f64 v[249:250], v[176:177], -v[180:181]
	v_add_f64 v[20:21], v[245:246], v[20:21]
	v_mul_f64 v[245:246], v[6:7], s[52:53]
	v_add_f64 v[26:27], v[241:242], v[26:27]
	v_fma_f64 v[241:242], v[8:9], s[50:51], v[245:246]
	v_fma_f64 v[247:248], v[8:9], s[54:55], v[245:246]
	v_add_f64 v[22:23], v[241:242], v[22:23]
	v_mul_f64 v[241:242], v[10:11], s[42:43]
	v_add_f64 v[24:25], v[247:248], v[24:25]
	v_fma_f64 v[245:246], v[4:5], s[40:41], v[241:242]
	v_fma_f64 v[241:242], v[4:5], s[40:41], -v[241:242]
	v_add_f64 v[28:29], v[245:246], v[28:29]
	v_mul_f64 v[245:246], v[6:7], s[40:41]
	v_add_f64 v[34:35], v[241:242], v[34:35]
	v_fma_f64 v[241:242], v[8:9], s[42:43], v[245:246]
	v_fma_f64 v[247:248], v[8:9], s[38:39], v[245:246]
	v_add_f64 v[30:31], v[241:242], v[30:31]
	v_mul_f64 v[241:242], v[10:11], s[16:17]
	v_add_f64 v[32:33], v[247:248], v[32:33]
	v_fma_f64 v[245:246], v[4:5], s[14:15], v[241:242]
	v_fma_f64 v[241:242], v[4:5], s[14:15], -v[241:242]
	v_add_f64 v[36:37], v[245:246], v[36:37]
	v_mul_f64 v[245:246], v[6:7], s[14:15]
	v_add_f64 v[42:43], v[241:242], v[42:43]
	v_fma_f64 v[241:242], v[8:9], s[16:17], v[245:246]
	v_fma_f64 v[247:248], v[8:9], s[10:11], v[245:246]
	v_add_f64 v[38:39], v[241:242], v[38:39]
	v_mul_f64 v[241:242], v[10:11], s[20:21]
	v_mul_f64 v[10:11], v[10:11], s[46:47]
	v_add_f64 v[40:41], v[247:248], v[40:41]
	v_fma_f64 v[245:246], v[4:5], s[18:19], v[241:242]
	v_fma_f64 v[241:242], v[4:5], s[18:19], -v[241:242]
	v_add_f64 v[44:45], v[245:246], v[44:45]
	v_mul_f64 v[245:246], v[6:7], s[18:19]
	v_add_f64 v[50:51], v[241:242], v[50:51]
	v_mul_f64 v[6:7], v[6:7], s[44:45]
	v_fma_f64 v[241:242], v[8:9], s[20:21], v[245:246]
	v_fma_f64 v[247:248], v[8:9], s[22:23], v[245:246]
	;; [unrolled: 1-line block ×3, first 2 shown]
	v_add_f64 v[46:47], v[241:242], v[46:47]
	v_fma_f64 v[241:242], v[4:5], s[44:45], v[10:11]
	v_fma_f64 v[4:5], v[4:5], s[44:45], -v[10:11]
	v_add_f64 v[10:11], v[233:234], -v[237:238]
	v_add_f64 v[48:49], v[247:248], v[48:49]
	v_add_f64 v[52:53], v[245:246], v[52:53]
	;; [unrolled: 1-line block ×4, first 2 shown]
	v_fma_f64 v[4:5], v[8:9], s[46:47], v[6:7]
	v_add_f64 v[8:9], v[231:232], -v[235:236]
	v_add_f64 v[6:7], v[233:234], v[237:238]
	v_add_f64 v[253:254], v[178:179], v[182:183]
	;; [unrolled: 1-line block ×4, first 2 shown]
	v_mul_f64 v[231:232], v[10:11], s[22:23]
	v_fma_f64 v[233:234], v[4:5], s[18:19], v[231:232]
	v_fma_f64 v[231:232], v[4:5], s[18:19], -v[231:232]
	v_add_f64 v[14:15], v[233:234], v[14:15]
	v_mul_f64 v[233:234], v[6:7], s[18:19]
	v_add_f64 v[12:13], v[231:232], v[12:13]
	v_fma_f64 v[231:232], v[8:9], s[22:23], v[233:234]
	v_fma_f64 v[235:236], v[8:9], s[20:21], v[233:234]
	v_add_f64 v[16:17], v[231:232], v[16:17]
	v_mul_f64 v[231:232], v[10:11], s[24:25]
	v_add_f64 v[18:19], v[235:236], v[18:19]
	v_fma_f64 v[233:234], v[4:5], s[26:27], v[231:232]
	v_fma_f64 v[231:232], v[4:5], s[26:27], -v[231:232]
	v_add_f64 v[218:219], v[233:234], v[218:219]
	v_mul_f64 v[233:234], v[6:7], s[26:27]
	v_add_f64 v[54:55], v[231:232], v[54:55]
	v_fma_f64 v[231:232], v[8:9], s[24:25], v[233:234]
	v_fma_f64 v[235:236], v[8:9], s[28:29], v[233:234]
	v_add_f64 v[216:217], v[231:232], v[216:217]
	v_mul_f64 v[231:232], v[10:11], s[54:55]
	v_add_f64 v[223:224], v[235:236], v[223:224]
	;; [unrolled: 10-line block ×5, first 2 shown]
	v_fma_f64 v[233:234], v[4:5], s[44:45], v[231:232]
	v_fma_f64 v[231:232], v[4:5], s[44:45], -v[231:232]
	v_add_f64 v[36:37], v[233:234], v[36:37]
	v_mul_f64 v[233:234], v[6:7], s[44:45]
	v_add_f64 v[42:43], v[231:232], v[42:43]
	v_fma_f64 v[231:232], v[8:9], s[48:49], v[233:234]
	v_fma_f64 v[237:238], v[8:9], s[46:47], v[233:234]
	v_add_f64 v[38:39], v[231:232], v[38:39]
	v_mul_f64 v[231:232], v[10:11], s[8:9]
	v_mul_f64 v[10:11], v[10:11], s[38:39]
	v_add_f64 v[40:41], v[237:238], v[40:41]
	v_fma_f64 v[233:234], v[4:5], s[2:3], v[231:232]
	v_fma_f64 v[231:232], v[4:5], s[2:3], -v[231:232]
	v_add_f64 v[44:45], v[233:234], v[44:45]
	v_mul_f64 v[233:234], v[6:7], s[2:3]
	v_add_f64 v[50:51], v[231:232], v[50:51]
	v_mul_f64 v[6:7], v[6:7], s[40:41]
	v_fma_f64 v[231:232], v[8:9], s[8:9], v[233:234]
	v_fma_f64 v[237:238], v[8:9], s[0:1], v[233:234]
	;; [unrolled: 1-line block ×3, first 2 shown]
	v_add_f64 v[46:47], v[231:232], v[46:47]
	v_fma_f64 v[231:232], v[4:5], s[40:41], v[10:11]
	v_fma_f64 v[4:5], v[4:5], s[40:41], -v[10:11]
	v_add_f64 v[10:11], v[210:211], -v[214:215]
	v_add_f64 v[52:53], v[233:234], v[52:53]
	v_add_f64 v[48:49], v[237:238], v[48:49]
	;; [unrolled: 1-line block ×4, first 2 shown]
	v_fma_f64 v[4:5], v[8:9], s[38:39], v[6:7]
	v_add_f64 v[8:9], v[208:209], -v[212:213]
	v_add_f64 v[6:7], v[210:211], v[214:215]
	v_add_f64 v[2:3], v[4:5], v[2:3]
	;; [unrolled: 1-line block ×3, first 2 shown]
	v_mul_f64 v[208:209], v[10:11], s[8:9]
	v_fma_f64 v[210:211], v[4:5], s[2:3], v[208:209]
	v_fma_f64 v[208:209], v[4:5], s[2:3], -v[208:209]
	v_add_f64 v[14:15], v[210:211], v[14:15]
	v_mul_f64 v[210:211], v[6:7], s[2:3]
	v_add_f64 v[12:13], v[208:209], v[12:13]
	v_fma_f64 v[208:209], v[8:9], s[8:9], v[210:211]
	v_fma_f64 v[212:213], v[8:9], s[0:1], v[210:211]
	v_add_f64 v[16:17], v[208:209], v[16:17]
	v_mul_f64 v[208:209], v[10:11], s[50:51]
	v_add_f64 v[18:19], v[212:213], v[18:19]
	v_mul_f64 v[212:213], v[6:7], s[52:53]
	v_fma_f64 v[210:211], v[4:5], s[52:53], v[208:209]
	v_fma_f64 v[208:209], v[4:5], s[52:53], -v[208:209]
	v_fma_f64 v[214:215], v[8:9], s[54:55], v[212:213]
	v_add_f64 v[210:211], v[210:211], v[218:219]
	v_add_f64 v[54:55], v[208:209], v[54:55]
	v_fma_f64 v[208:209], v[8:9], s[50:51], v[212:213]
	v_mul_f64 v[212:213], v[10:11], s[16:17]
	v_mul_f64 v[218:219], v[6:7], s[14:15]
	v_add_f64 v[214:215], v[214:215], v[223:224]
	v_add_f64 v[208:209], v[208:209], v[216:217]
	v_fma_f64 v[216:217], v[4:5], s[14:15], v[212:213]
	v_fma_f64 v[212:213], v[4:5], s[14:15], -v[212:213]
	v_fma_f64 v[223:224], v[8:9], s[10:11], v[218:219]
	v_fma_f64 v[218:219], v[8:9], s[16:17], v[218:219]
	v_add_f64 v[216:217], v[216:217], v[227:228]
	v_add_f64 v[212:213], v[212:213], v[221:222]
	v_mul_f64 v[221:222], v[10:11], s[46:47]
	v_add_f64 v[218:219], v[218:219], v[229:230]
	v_add_f64 v[223:224], v[223:224], v[235:236]
	v_fma_f64 v[227:228], v[4:5], s[44:45], v[221:222]
	v_fma_f64 v[221:222], v[4:5], s[44:45], -v[221:222]
	v_add_f64 v[20:21], v[227:228], v[20:21]
	v_mul_f64 v[227:228], v[6:7], s[44:45]
	v_add_f64 v[26:27], v[221:222], v[26:27]
	v_fma_f64 v[221:222], v[8:9], s[46:47], v[227:228]
	v_fma_f64 v[229:230], v[8:9], s[48:49], v[227:228]
	v_add_f64 v[22:23], v[221:222], v[22:23]
	v_mul_f64 v[221:222], v[10:11], s[22:23]
	v_add_f64 v[24:25], v[229:230], v[24:25]
	v_fma_f64 v[227:228], v[4:5], s[18:19], v[221:222]
	v_fma_f64 v[221:222], v[4:5], s[18:19], -v[221:222]
	v_add_f64 v[28:29], v[227:228], v[28:29]
	v_mul_f64 v[227:228], v[6:7], s[18:19]
	v_add_f64 v[34:35], v[221:222], v[34:35]
	v_fma_f64 v[221:222], v[8:9], s[22:23], v[227:228]
	v_fma_f64 v[229:230], v[8:9], s[20:21], v[227:228]
	v_add_f64 v[30:31], v[221:222], v[30:31]
	v_mul_f64 v[221:222], v[10:11], s[38:39]
	;; [unrolled: 10-line block ×3, first 2 shown]
	v_mul_f64 v[10:11], v[10:11], s[34:35]
	v_add_f64 v[40:41], v[229:230], v[40:41]
	v_fma_f64 v[227:228], v[4:5], s[26:27], v[221:222]
	v_fma_f64 v[221:222], v[4:5], s[26:27], -v[221:222]
	v_add_f64 v[44:45], v[227:228], v[44:45]
	v_mul_f64 v[227:228], v[6:7], s[26:27]
	v_add_f64 v[50:51], v[221:222], v[50:51]
	v_mul_f64 v[6:7], v[6:7], s[30:31]
	v_fma_f64 v[221:222], v[8:9], s[28:29], v[227:228]
	v_fma_f64 v[229:230], v[8:9], s[24:25], v[227:228]
	;; [unrolled: 1-line block ×3, first 2 shown]
	v_add_f64 v[46:47], v[221:222], v[46:47]
	v_fma_f64 v[221:222], v[4:5], s[30:31], v[10:11]
	v_fma_f64 v[4:5], v[4:5], s[30:31], -v[10:11]
	v_add_f64 v[10:11], v[202:203], -v[206:207]
	v_add_f64 v[52:53], v[227:228], v[52:53]
	v_add_f64 v[48:49], v[229:230], v[48:49]
	v_add_f64 v[221:222], v[221:222], v[231:232]
	v_add_f64 v[0:1], v[4:5], v[0:1]
	v_fma_f64 v[4:5], v[8:9], s[34:35], v[6:7]
	v_add_f64 v[8:9], v[200:201], -v[204:205]
	v_add_f64 v[6:7], v[202:203], v[206:207]
	v_add_f64 v[2:3], v[4:5], v[2:3]
	;; [unrolled: 1-line block ×3, first 2 shown]
	v_mul_f64 v[200:201], v[10:11], s[10:11]
	v_fma_f64 v[202:203], v[4:5], s[14:15], v[200:201]
	v_fma_f64 v[200:201], v[4:5], s[14:15], -v[200:201]
	v_add_f64 v[14:15], v[202:203], v[14:15]
	v_mul_f64 v[202:203], v[6:7], s[14:15]
	v_add_f64 v[12:13], v[200:201], v[12:13]
	v_fma_f64 v[200:201], v[8:9], s[10:11], v[202:203]
	v_fma_f64 v[204:205], v[8:9], s[16:17], v[202:203]
	v_add_f64 v[16:17], v[200:201], v[16:17]
	v_mul_f64 v[200:201], v[10:11], s[42:43]
	v_add_f64 v[18:19], v[204:205], v[18:19]
	v_mul_f64 v[204:205], v[6:7], s[40:41]
	v_fma_f64 v[202:203], v[4:5], s[40:41], v[200:201]
	v_fma_f64 v[200:201], v[4:5], s[40:41], -v[200:201]
	v_fma_f64 v[206:207], v[8:9], s[38:39], v[204:205]
	v_add_f64 v[202:203], v[202:203], v[210:211]
	v_add_f64 v[54:55], v[200:201], v[54:55]
	v_fma_f64 v[200:201], v[8:9], s[42:43], v[204:205]
	v_mul_f64 v[204:205], v[10:11], s[34:35]
	v_mul_f64 v[210:211], v[6:7], s[30:31]
	v_add_f64 v[206:207], v[206:207], v[214:215]
	v_add_f64 v[200:201], v[200:201], v[208:209]
	v_fma_f64 v[208:209], v[4:5], s[30:31], v[204:205]
	v_fma_f64 v[204:205], v[4:5], s[30:31], -v[204:205]
	v_fma_f64 v[214:215], v[8:9], s[36:37], v[210:211]
	v_fma_f64 v[210:211], v[8:9], s[34:35], v[210:211]
	v_add_f64 v[208:209], v[208:209], v[216:217]
	v_add_f64 v[204:205], v[204:205], v[212:213]
	v_mul_f64 v[212:213], v[10:11], s[22:23]
	v_add_f64 v[210:211], v[210:211], v[218:219]
	v_add_f64 v[214:215], v[214:215], v[223:224]
	v_add_f64 v[223:224], v[186:187], -v[190:191]
	v_fma_f64 v[216:217], v[4:5], s[18:19], v[212:213]
	v_fma_f64 v[212:213], v[4:5], s[18:19], -v[212:213]
	v_add_f64 v[20:21], v[216:217], v[20:21]
	v_mul_f64 v[216:217], v[6:7], s[18:19]
	v_add_f64 v[26:27], v[212:213], v[26:27]
	v_fma_f64 v[212:213], v[8:9], s[22:23], v[216:217]
	v_fma_f64 v[218:219], v[8:9], s[20:21], v[216:217]
	v_add_f64 v[22:23], v[212:213], v[22:23]
	v_mul_f64 v[212:213], v[10:11], s[50:51]
	v_add_f64 v[24:25], v[218:219], v[24:25]
	v_fma_f64 v[216:217], v[4:5], s[52:53], v[212:213]
	v_fma_f64 v[212:213], v[4:5], s[52:53], -v[212:213]
	v_add_f64 v[28:29], v[216:217], v[28:29]
	v_mul_f64 v[216:217], v[6:7], s[52:53]
	v_add_f64 v[34:35], v[212:213], v[34:35]
	v_fma_f64 v[212:213], v[8:9], s[50:51], v[216:217]
	v_fma_f64 v[218:219], v[8:9], s[54:55], v[216:217]
	v_add_f64 v[30:31], v[212:213], v[30:31]
	v_mul_f64 v[212:213], v[10:11], s[0:1]
	v_add_f64 v[32:33], v[218:219], v[32:33]
	v_fma_f64 v[216:217], v[4:5], s[2:3], v[212:213]
	v_fma_f64 v[212:213], v[4:5], s[2:3], -v[212:213]
	v_add_f64 v[36:37], v[216:217], v[36:37]
	v_mul_f64 v[216:217], v[6:7], s[2:3]
	v_add_f64 v[42:43], v[212:213], v[42:43]
	v_fma_f64 v[212:213], v[8:9], s[0:1], v[216:217]
	v_fma_f64 v[218:219], v[8:9], s[8:9], v[216:217]
	v_add_f64 v[38:39], v[212:213], v[38:39]
	v_mul_f64 v[212:213], v[10:11], s[48:49]
	v_mul_f64 v[10:11], v[10:11], s[24:25]
	v_add_f64 v[40:41], v[218:219], v[40:41]
	v_fma_f64 v[216:217], v[4:5], s[44:45], v[212:213]
	v_fma_f64 v[212:213], v[4:5], s[44:45], -v[212:213]
	v_add_f64 v[44:45], v[216:217], v[44:45]
	v_mul_f64 v[216:217], v[6:7], s[44:45]
	v_add_f64 v[50:51], v[212:213], v[50:51]
	v_mul_f64 v[6:7], v[6:7], s[26:27]
	v_fma_f64 v[212:213], v[8:9], s[48:49], v[216:217]
	v_fma_f64 v[218:219], v[8:9], s[46:47], v[216:217]
	;; [unrolled: 1-line block ×3, first 2 shown]
	v_add_f64 v[46:47], v[212:213], v[46:47]
	v_fma_f64 v[212:213], v[4:5], s[26:27], v[10:11]
	v_fma_f64 v[4:5], v[4:5], s[26:27], -v[10:11]
	v_add_f64 v[10:11], v[194:195], -v[198:199]
	v_add_f64 v[52:53], v[216:217], v[52:53]
	v_add_f64 v[48:49], v[218:219], v[48:49]
	;; [unrolled: 1-line block ×4, first 2 shown]
	v_fma_f64 v[4:5], v[8:9], s[24:25], v[6:7]
	v_add_f64 v[8:9], v[192:193], -v[196:197]
	v_add_f64 v[6:7], v[194:195], v[198:199]
	v_add_f64 v[2:3], v[4:5], v[2:3]
	;; [unrolled: 1-line block ×3, first 2 shown]
	v_mul_f64 v[192:193], v[10:11], s[24:25]
	v_fma_f64 v[194:195], v[4:5], s[26:27], v[192:193]
	v_fma_f64 v[192:193], v[4:5], s[26:27], -v[192:193]
	v_add_f64 v[14:15], v[194:195], v[14:15]
	v_mul_f64 v[194:195], v[6:7], s[26:27]
	v_add_f64 v[12:13], v[192:193], v[12:13]
	v_fma_f64 v[192:193], v[8:9], s[24:25], v[194:195]
	v_fma_f64 v[196:197], v[8:9], s[28:29], v[194:195]
	v_add_f64 v[16:17], v[192:193], v[16:17]
	v_mul_f64 v[192:193], v[10:11], s[16:17]
	v_add_f64 v[18:19], v[196:197], v[18:19]
	v_mul_f64 v[196:197], v[6:7], s[14:15]
	v_fma_f64 v[194:195], v[4:5], s[14:15], v[192:193]
	v_fma_f64 v[192:193], v[4:5], s[14:15], -v[192:193]
	v_fma_f64 v[198:199], v[8:9], s[10:11], v[196:197]
	v_add_f64 v[194:195], v[194:195], v[202:203]
	v_add_f64 v[54:55], v[192:193], v[54:55]
	v_fma_f64 v[192:193], v[8:9], s[16:17], v[196:197]
	v_mul_f64 v[196:197], v[10:11], s[48:49]
	v_mul_f64 v[202:203], v[6:7], s[44:45]
	v_add_f64 v[198:199], v[198:199], v[206:207]
	v_add_f64 v[192:193], v[192:193], v[200:201]
	v_fma_f64 v[200:201], v[4:5], s[44:45], v[196:197]
	v_fma_f64 v[196:197], v[4:5], s[44:45], -v[196:197]
	v_fma_f64 v[206:207], v[8:9], s[46:47], v[202:203]
	v_fma_f64 v[202:203], v[8:9], s[48:49], v[202:203]
	v_add_f64 v[200:201], v[200:201], v[208:209]
	v_add_f64 v[196:197], v[196:197], v[204:205]
	v_mul_f64 v[204:205], v[10:11], s[38:39]
	v_add_f64 v[202:203], v[202:203], v[210:211]
	v_add_f64 v[206:207], v[206:207], v[214:215]
	v_fma_f64 v[208:209], v[4:5], s[40:41], v[204:205]
	v_fma_f64 v[204:205], v[4:5], s[40:41], -v[204:205]
	v_add_f64 v[20:21], v[208:209], v[20:21]
	v_mul_f64 v[208:209], v[6:7], s[40:41]
	v_add_f64 v[26:27], v[204:205], v[26:27]
	v_fma_f64 v[204:205], v[8:9], s[38:39], v[208:209]
	v_fma_f64 v[210:211], v[8:9], s[42:43], v[208:209]
	v_add_f64 v[22:23], v[204:205], v[22:23]
	v_mul_f64 v[204:205], v[10:11], s[0:1]
	v_add_f64 v[24:25], v[210:211], v[24:25]
	v_fma_f64 v[208:209], v[4:5], s[2:3], v[204:205]
	v_fma_f64 v[204:205], v[4:5], s[2:3], -v[204:205]
	v_add_f64 v[28:29], v[208:209], v[28:29]
	v_mul_f64 v[208:209], v[6:7], s[2:3]
	v_add_f64 v[34:35], v[204:205], v[34:35]
	v_fma_f64 v[204:205], v[8:9], s[0:1], v[208:209]
	v_fma_f64 v[210:211], v[8:9], s[8:9], v[208:209]
	v_add_f64 v[30:31], v[204:205], v[30:31]
	v_mul_f64 v[204:205], v[10:11], s[36:37]
	;; [unrolled: 10-line block ×3, first 2 shown]
	v_mul_f64 v[10:11], v[10:11], s[20:21]
	v_add_f64 v[40:41], v[210:211], v[40:41]
	v_fma_f64 v[208:209], v[4:5], s[52:53], v[204:205]
	v_fma_f64 v[204:205], v[4:5], s[52:53], -v[204:205]
	v_add_f64 v[44:45], v[208:209], v[44:45]
	v_mul_f64 v[208:209], v[6:7], s[52:53]
	v_add_f64 v[50:51], v[204:205], v[50:51]
	v_mul_f64 v[6:7], v[6:7], s[18:19]
	v_fma_f64 v[204:205], v[8:9], s[50:51], v[208:209]
	v_fma_f64 v[210:211], v[8:9], s[54:55], v[208:209]
	v_add_f64 v[46:47], v[204:205], v[46:47]
	v_fma_f64 v[204:205], v[4:5], s[18:19], v[10:11]
	v_fma_f64 v[4:5], v[4:5], s[18:19], -v[10:11]
	v_add_f64 v[10:11], v[184:185], -v[188:189]
	v_add_f64 v[48:49], v[210:211], v[48:49]
	v_add_f64 v[221:222], v[204:205], v[212:213]
	;; [unrolled: 1-line block ×3, first 2 shown]
	v_fma_f64 v[4:5], v[8:9], s[20:21], v[6:7]
	v_fma_f64 v[204:205], v[8:9], s[22:23], v[6:7]
	v_add_f64 v[6:7], v[184:185], v[188:189]
	v_add_f64 v[8:9], v[186:187], v[190:191]
	;; [unrolled: 1-line block ×3, first 2 shown]
	v_mul_f64 v[2:3], v[223:224], s[38:39]
	v_add_f64 v[52:53], v[204:205], v[52:53]
	v_fma_f64 v[184:185], v[6:7], s[40:41], v[2:3]
	v_fma_f64 v[2:3], v[6:7], s[40:41], -v[2:3]
	v_add_f64 v[247:248], v[184:185], v[14:15]
	v_mul_f64 v[14:15], v[8:9], s[40:41]
	v_add_f64 v[2:3], v[2:3], v[12:13]
	v_fma_f64 v[12:13], v[10:11], s[38:39], v[14:15]
	v_fma_f64 v[184:185], v[10:11], s[42:43], v[14:15]
	v_add_f64 v[245:246], v[12:13], v[16:17]
	v_mul_f64 v[12:13], v[223:224], s[20:21]
	v_add_f64 v[241:242], v[184:185], v[18:19]
	v_fma_f64 v[14:15], v[6:7], s[18:19], v[12:13]
	v_fma_f64 v[12:13], v[6:7], s[18:19], -v[12:13]
	v_add_f64 v[188:189], v[14:15], v[194:195]
	v_mul_f64 v[14:15], v[8:9], s[18:19]
	v_add_f64 v[184:185], v[12:13], v[54:55]
	v_fma_f64 v[12:13], v[10:11], s[20:21], v[14:15]
	v_fma_f64 v[16:17], v[10:11], s[22:23], v[14:15]
	v_add_f64 v[186:187], v[12:13], v[192:193]
	;; [unrolled: 10-line block ×6, first 2 shown]
	v_mul_f64 v[12:13], v[223:224], s[34:35]
	v_add_f64 v[218:219], v[16:17], v[40:41]
	v_fma_f64 v[14:15], v[6:7], s[30:31], v[12:13]
	v_fma_f64 v[12:13], v[6:7], s[30:31], -v[12:13]
	v_add_f64 v[235:236], v[14:15], v[44:45]
	v_mul_f64 v[14:15], v[8:9], s[30:31]
	v_add_f64 v[231:232], v[12:13], v[50:51]
	v_mul_f64 v[8:9], v[8:9], s[14:15]
	v_fma_f64 v[12:13], v[10:11], s[34:35], v[14:15]
	v_fma_f64 v[16:17], v[10:11], s[36:37], v[14:15]
	v_add_f64 v[229:230], v[12:13], v[46:47]
	v_mul_f64 v[12:13], v[223:224], s[10:11]
	v_add_f64 v[233:234], v[16:17], v[48:49]
	v_fma_f64 v[14:15], v[6:7], s[14:15], v[12:13]
	v_fma_f64 v[6:7], v[6:7], s[14:15], -v[12:13]
	v_add_f64 v[227:228], v[14:15], v[221:222]
	v_add_f64 v[12:13], v[6:7], v[0:1]
	v_fma_f64 v[0:1], v[10:11], s[10:11], v[8:9]
	v_fma_f64 v[14:15], v[10:11], s[16:17], v[8:9]
	v_add_f64 v[10:11], v[0:1], v[4:5]
	v_add_f64 v[0:1], v[178:179], -v[182:183]
	v_add_f64 v[14:15], v[14:15], v[52:53]
	v_mul_f64 v[4:5], v[0:1], s[50:51]
	v_fma_f64 v[6:7], v[251:252], s[52:53], v[4:5]
	v_fma_f64 v[4:5], v[251:252], s[52:53], -v[4:5]
	v_add_f64 v[180:181], v[6:7], v[247:248]
	v_mul_f64 v[6:7], v[253:254], s[52:53]
	v_add_f64 v[176:177], v[4:5], v[2:3]
	v_fma_f64 v[2:3], v[249:250], s[50:51], v[6:7]
	v_fma_f64 v[8:9], v[249:250], s[54:55], v[6:7]
	v_add_f64 v[178:179], v[2:3], v[245:246]
	v_mul_f64 v[2:3], v[0:1], s[46:47]
	v_add_f64 v[182:183], v[8:9], v[241:242]
	v_fma_f64 v[4:5], v[251:252], s[44:45], v[2:3]
	v_fma_f64 v[2:3], v[251:252], s[44:45], -v[2:3]
	v_add_f64 v[188:189], v[4:5], v[188:189]
	v_mul_f64 v[4:5], v[253:254], s[44:45]
	v_add_f64 v[184:185], v[2:3], v[184:185]
	v_fma_f64 v[2:3], v[249:250], s[46:47], v[4:5]
	v_fma_f64 v[6:7], v[249:250], s[48:49], v[4:5]
	v_add_f64 v[186:187], v[2:3], v[186:187]
	v_mul_f64 v[2:3], v[0:1], s[38:39]
	v_add_f64 v[190:191], v[6:7], v[190:191]
	;; [unrolled: 10-line block ×6, first 2 shown]
	v_fma_f64 v[4:5], v[251:252], s[14:15], v[2:3]
	v_fma_f64 v[2:3], v[251:252], s[14:15], -v[2:3]
	v_add_f64 v[235:236], v[4:5], v[235:236]
	v_mul_f64 v[4:5], v[253:254], s[14:15]
	v_add_f64 v[231:232], v[2:3], v[231:232]
	v_fma_f64 v[6:7], v[249:250], s[16:17], v[4:5]
	v_fma_f64 v[2:3], v[249:250], s[10:11], v[4:5]
	v_mul_f64 v[4:5], v[0:1], s[0:1]
	v_add_f64 v[237:238], v[6:7], v[233:234]
	v_mul_f64 v[6:7], v[253:254], s[2:3]
	v_fma_f64 v[0:1], v[251:252], s[2:3], v[4:5]
	v_fma_f64 v[4:5], v[251:252], s[2:3], -v[4:5]
	v_add_f64 v[233:234], v[2:3], v[229:230]
	v_fma_f64 v[2:3], v[249:250], s[8:9], v[6:7]
	v_add_f64 v[0:1], v[0:1], v[227:228]
	v_add_f64 v[227:228], v[4:5], v[12:13]
	v_fma_f64 v[4:5], v[249:250], s[0:1], v[6:7]
	v_add_f64 v[2:3], v[2:3], v[14:15]
	v_add_f64 v[229:230], v[4:5], v[10:11]
	ds_write_b128 v243, v[172:175]
	ds_write_b128 v243, v[180:183] offset:16
	ds_write_b128 v243, v[188:191] offset:32
	;; [unrolled: 1-line block ×16, first 2 shown]
	s_waitcnt lgkmcnt(0)
	s_barrier
	buffer_gl0_inv
	ds_read_b128 v[172:175], v255
	ds_read_b128 v[0:3], v255 offset:544
	ds_read_b128 v[176:179], v255 offset:1088
	;; [unrolled: 1-line block ×16, first 2 shown]
	s_waitcnt lgkmcnt(0)
	s_barrier
	buffer_gl0_inv
	v_mul_f64 v[4:5], v[106:107], v[2:3]
	v_mul_f64 v[8:9], v[130:131], v[235:236]
	;; [unrolled: 1-line block ×3, first 2 shown]
	v_fma_f64 v[4:5], v[104:105], v[0:1], v[4:5]
	v_mul_f64 v[0:1], v[106:107], v[0:1]
	v_fma_f64 v[10:11], v[100:101], v[251:252], -v[10:11]
	v_add_f64 v[12:13], v[172:173], v[4:5]
	v_fma_f64 v[6:7], v[104:105], v[2:3], -v[0:1]
	v_mul_f64 v[0:1], v[78:79], v[178:179]
	v_mul_f64 v[2:3], v[70:71], v[192:193]
	v_add_f64 v[14:15], v[174:175], v[6:7]
	v_fma_f64 v[186:187], v[76:77], v[176:177], v[0:1]
	v_mul_f64 v[0:1], v[78:79], v[176:177]
	v_add_f64 v[12:13], v[12:13], v[186:187]
	v_fma_f64 v[184:185], v[76:77], v[178:179], -v[0:1]
	v_fma_f64 v[178:179], v[68:69], v[194:195], -v[2:3]
	v_mul_f64 v[2:3], v[114:115], v[198:199]
	v_mul_f64 v[0:1], v[74:75], v[190:191]
	v_add_f64 v[14:15], v[14:15], v[184:185]
	v_fma_f64 v[176:177], v[112:113], v[196:197], v[2:3]
	v_mul_f64 v[2:3], v[114:115], v[196:197]
	v_fma_f64 v[182:183], v[72:73], v[188:189], v[0:1]
	v_mul_f64 v[0:1], v[74:75], v[188:189]
	v_fma_f64 v[112:113], v[112:113], v[198:199], -v[2:3]
	v_mul_f64 v[2:3], v[94:95], v[202:203]
	v_fma_f64 v[180:181], v[72:73], v[190:191], -v[0:1]
	v_mul_f64 v[0:1], v[70:71], v[194:195]
	v_add_f64 v[12:13], v[12:13], v[182:183]
	v_fma_f64 v[104:105], v[92:93], v[200:201], v[2:3]
	v_mul_f64 v[2:3], v[94:95], v[200:201]
	v_add_f64 v[14:15], v[14:15], v[180:181]
	v_fma_f64 v[0:1], v[68:69], v[192:193], v[0:1]
	v_fma_f64 v[94:95], v[92:93], v[202:203], -v[2:3]
	v_mul_f64 v[2:3], v[86:87], v[206:207]
	v_add_f64 v[14:15], v[14:15], v[178:179]
	v_add_f64 v[12:13], v[12:13], v[0:1]
	v_fma_f64 v[92:93], v[84:85], v[204:205], v[2:3]
	v_mul_f64 v[2:3], v[86:87], v[204:205]
	v_add_f64 v[14:15], v[14:15], v[112:113]
	v_add_f64 v[12:13], v[12:13], v[176:177]
	v_fma_f64 v[84:85], v[84:85], v[206:207], -v[2:3]
	v_mul_f64 v[2:3], v[82:83], v[210:211]
	v_add_f64 v[14:15], v[14:15], v[94:95]
	v_add_f64 v[12:13], v[12:13], v[104:105]
	v_fma_f64 v[76:77], v[80:81], v[208:209], v[2:3]
	v_mul_f64 v[2:3], v[82:83], v[208:209]
	v_add_f64 v[14:15], v[14:15], v[84:85]
	v_add_f64 v[12:13], v[12:13], v[92:93]
	v_fma_f64 v[72:73], v[80:81], v[210:211], -v[2:3]
	v_mul_f64 v[2:3], v[126:127], v[214:215]
	v_add_f64 v[12:13], v[12:13], v[76:77]
	v_add_f64 v[14:15], v[14:15], v[72:73]
	v_fma_f64 v[78:79], v[124:125], v[212:213], v[2:3]
	v_mul_f64 v[2:3], v[126:127], v[212:213]
	v_add_f64 v[12:13], v[12:13], v[78:79]
	v_fma_f64 v[74:75], v[124:125], v[214:215], -v[2:3]
	v_mul_f64 v[2:3], v[110:111], v[218:219]
	v_add_f64 v[14:15], v[14:15], v[74:75]
	v_fma_f64 v[82:83], v[108:109], v[216:217], v[2:3]
	v_mul_f64 v[2:3], v[110:111], v[216:217]
	v_add_f64 v[12:13], v[12:13], v[82:83]
	v_fma_f64 v[80:81], v[108:109], v[218:219], -v[2:3]
	v_mul_f64 v[2:3], v[98:99], v[229:230]
	;; [unrolled: 6-line block ×3, first 2 shown]
	v_add_f64 v[14:15], v[14:15], v[86:87]
	v_fma_f64 v[96:97], v[88:89], v[231:232], v[2:3]
	v_mul_f64 v[2:3], v[90:91], v[231:232]
	v_fma_f64 v[90:91], v[128:129], v[237:238], -v[8:9]
	v_mul_f64 v[8:9], v[122:123], v[241:242]
	v_add_f64 v[12:13], v[12:13], v[96:97]
	v_fma_f64 v[88:89], v[88:89], v[233:234], -v[2:3]
	v_mul_f64 v[2:3], v[130:131], v[237:238]
	v_fma_f64 v[108:109], v[120:121], v[239:240], v[8:9]
	v_mul_f64 v[8:9], v[122:123], v[239:240]
	v_add_f64 v[14:15], v[14:15], v[88:89]
	v_fma_f64 v[2:3], v[128:129], v[235:236], v[2:3]
	v_fma_f64 v[98:99], v[120:121], v[241:242], -v[8:9]
	v_mul_f64 v[8:9], v[118:119], v[247:248]
	v_add_f64 v[14:15], v[14:15], v[90:91]
	v_add_f64 v[12:13], v[12:13], v[2:3]
	v_fma_f64 v[114:115], v[116:117], v[245:246], v[8:9]
	v_mul_f64 v[8:9], v[118:119], v[245:246]
	v_add_f64 v[14:15], v[14:15], v[98:99]
	v_add_f64 v[12:13], v[12:13], v[108:109]
	v_fma_f64 v[110:111], v[116:117], v[247:248], -v[8:9]
	v_mul_f64 v[8:9], v[102:103], v[251:252]
	v_add_f64 v[12:13], v[12:13], v[114:115]
	v_add_f64 v[14:15], v[14:15], v[110:111]
	v_fma_f64 v[8:9], v[100:101], v[249:250], v[8:9]
	v_add_f64 v[70:71], v[14:15], v[10:11]
	v_add_f64 v[14:15], v[6:7], v[10:11]
	v_add_f64 v[6:7], v[6:7], -v[10:11]
	v_add_f64 v[68:69], v[12:13], v[8:9]
	v_add_f64 v[12:13], v[4:5], v[8:9]
	v_add_f64 v[4:5], v[4:5], -v[8:9]
	v_mul_f64 v[24:25], v[14:15], s[18:19]
	v_mul_f64 v[8:9], v[6:7], s[48:49]
	;; [unrolled: 1-line block ×11, first 2 shown]
	v_fma_f64 v[26:27], v[4:5], s[20:21], v[24:25]
	v_fma_f64 v[10:11], v[12:13], s[44:45], v[8:9]
	v_fma_f64 v[8:9], v[12:13], s[44:45], -v[8:9]
	v_fma_f64 v[24:25], v[4:5], s[22:23], v[24:25]
	v_fma_f64 v[34:35], v[4:5], s[0:1], v[32:33]
	v_fma_f64 v[32:33], v[4:5], s[8:9], v[32:33]
	v_fma_f64 v[42:43], v[4:5], s[16:17], v[40:41]
	v_fma_f64 v[40:41], v[4:5], s[10:11], v[40:41]
	v_fma_f64 v[50:51], v[4:5], s[28:29], v[48:49]
	v_fma_f64 v[48:49], v[4:5], s[24:25], v[48:49]
	v_fma_f64 v[122:123], v[4:5], s[42:43], v[120:121]
	v_fma_f64 v[120:121], v[4:5], s[38:39], v[120:121]
	v_fma_f64 v[22:23], v[12:13], s[18:19], v[20:21]
	v_fma_f64 v[20:21], v[12:13], s[18:19], -v[20:21]
	v_fma_f64 v[30:31], v[12:13], s[2:3], v[28:29]
	v_fma_f64 v[28:29], v[12:13], s[2:3], -v[28:29]
	v_fma_f64 v[38:39], v[12:13], s[14:15], v[36:37]
	;; [unrolled: 2-line block ×4, first 2 shown]
	v_fma_f64 v[52:53], v[12:13], s[40:41], -v[52:53]
	v_add_f64 v[26:27], v[174:175], v[26:27]
	v_add_f64 v[118:119], v[172:173], v[10:11]
	v_mul_f64 v[10:11], v[14:15], s[44:45]
	v_add_f64 v[102:103], v[172:173], v[8:9]
	v_add_f64 v[24:25], v[174:175], v[24:25]
	;; [unrolled: 1-line block ×20, first 2 shown]
	v_fma_f64 v[16:17], v[4:5], s[46:47], v[10:11]
	v_fma_f64 v[8:9], v[4:5], s[48:49], v[10:11]
	v_add_f64 v[100:101], v[174:175], v[16:17]
	v_mul_f64 v[16:17], v[14:15], s[30:31]
	v_mul_f64 v[14:15], v[14:15], s[52:53]
	v_add_f64 v[116:117], v[174:175], v[8:9]
	v_mul_f64 v[8:9], v[6:7], s[36:37]
	v_mul_f64 v[6:7], v[6:7], s[50:51]
	v_fma_f64 v[18:19], v[4:5], s[34:35], v[16:17]
	v_fma_f64 v[16:17], v[4:5], s[36:37], v[16:17]
	;; [unrolled: 1-line block ×4, first 2 shown]
	v_add_f64 v[14:15], v[184:185], v[110:111]
	v_add_f64 v[110:111], v[184:185], -v[110:111]
	v_fma_f64 v[10:11], v[12:13], s[30:31], v[8:9]
	v_fma_f64 v[8:9], v[12:13], s[30:31], -v[8:9]
	v_fma_f64 v[124:125], v[12:13], s[52:53], v[6:7]
	v_fma_f64 v[6:7], v[12:13], s[52:53], -v[6:7]
	v_add_f64 v[12:13], v[186:187], v[114:115]
	v_add_f64 v[114:115], v[186:187], -v[114:115]
	v_add_f64 v[18:19], v[174:175], v[18:19]
	v_add_f64 v[16:17], v[174:175], v[16:17]
	;; [unrolled: 1-line block ×4, first 2 shown]
	v_mul_f64 v[128:129], v[110:111], s[36:37]
	v_add_f64 v[10:11], v[172:173], v[10:11]
	v_add_f64 v[8:9], v[172:173], v[8:9]
	;; [unrolled: 1-line block ×4, first 2 shown]
	v_fma_f64 v[130:131], v[12:13], s[30:31], v[128:129]
	v_fma_f64 v[128:129], v[12:13], s[30:31], -v[128:129]
	v_add_f64 v[118:119], v[130:131], v[118:119]
	v_mul_f64 v[130:131], v[14:15], s[30:31]
	v_add_f64 v[102:103], v[128:129], v[102:103]
	v_fma_f64 v[128:129], v[114:115], s[36:37], v[130:131]
	v_fma_f64 v[172:173], v[114:115], s[34:35], v[130:131]
	v_add_f64 v[116:117], v[128:129], v[116:117]
	v_mul_f64 v[128:129], v[110:111], s[8:9]
	v_add_f64 v[100:101], v[172:173], v[100:101]
	v_fma_f64 v[130:131], v[12:13], s[2:3], v[128:129]
	v_fma_f64 v[128:129], v[12:13], s[2:3], -v[128:129]
	v_add_f64 v[10:11], v[130:131], v[10:11]
	v_mul_f64 v[130:131], v[14:15], s[2:3]
	v_add_f64 v[8:9], v[128:129], v[8:9]
	v_fma_f64 v[128:129], v[114:115], s[8:9], v[130:131]
	v_fma_f64 v[172:173], v[114:115], s[0:1], v[130:131]
	v_add_f64 v[16:17], v[128:129], v[16:17]
	v_mul_f64 v[128:129], v[110:111], s[24:25]
	v_add_f64 v[18:19], v[172:173], v[18:19]
	;; [unrolled: 10-line block ×5, first 2 shown]
	v_fma_f64 v[130:131], v[12:13], s[14:15], v[128:129]
	v_fma_f64 v[128:129], v[12:13], s[14:15], -v[128:129]
	v_add_f64 v[46:47], v[130:131], v[46:47]
	v_mul_f64 v[130:131], v[14:15], s[14:15]
	v_add_f64 v[44:45], v[128:129], v[44:45]
	v_fma_f64 v[128:129], v[114:115], s[16:17], v[130:131]
	v_fma_f64 v[172:173], v[114:115], s[10:11], v[130:131]
	v_add_f64 v[48:49], v[128:129], v[48:49]
	v_mul_f64 v[128:129], v[110:111], s[20:21]
	v_mul_f64 v[110:111], v[110:111], s[46:47]
	v_add_f64 v[50:51], v[172:173], v[50:51]
	v_fma_f64 v[130:131], v[12:13], s[18:19], v[128:129]
	v_fma_f64 v[128:129], v[12:13], s[18:19], -v[128:129]
	v_add_f64 v[54:55], v[130:131], v[54:55]
	v_mul_f64 v[130:131], v[14:15], s[18:19]
	v_add_f64 v[52:53], v[128:129], v[52:53]
	v_mul_f64 v[14:15], v[14:15], s[44:45]
	v_fma_f64 v[128:129], v[114:115], s[20:21], v[130:131]
	v_fma_f64 v[172:173], v[114:115], s[22:23], v[130:131]
	v_add_f64 v[120:121], v[128:129], v[120:121]
	v_fma_f64 v[128:129], v[12:13], s[44:45], v[110:111]
	v_fma_f64 v[12:13], v[12:13], s[44:45], -v[110:111]
	v_add_f64 v[122:123], v[172:173], v[122:123]
	v_add_f64 v[124:125], v[128:129], v[124:125]
	v_fma_f64 v[128:129], v[114:115], s[48:49], v[14:15]
	v_add_f64 v[6:7], v[12:13], v[6:7]
	v_fma_f64 v[12:13], v[114:115], s[46:47], v[14:15]
	v_add_f64 v[14:15], v[180:181], v[98:99]
	v_add_f64 v[98:99], v[180:181], -v[98:99]
	v_add_f64 v[126:127], v[128:129], v[126:127]
	v_add_f64 v[4:5], v[12:13], v[4:5]
	v_add_f64 v[12:13], v[182:183], v[108:109]
	v_mul_f64 v[110:111], v[98:99], s[22:23]
	v_add_f64 v[108:109], v[182:183], -v[108:109]
	v_fma_f64 v[114:115], v[12:13], s[18:19], v[110:111]
	v_fma_f64 v[110:111], v[12:13], s[18:19], -v[110:111]
	v_add_f64 v[114:115], v[114:115], v[118:119]
	v_mul_f64 v[118:119], v[14:15], s[18:19]
	v_add_f64 v[102:103], v[110:111], v[102:103]
	v_fma_f64 v[110:111], v[108:109], s[22:23], v[118:119]
	v_fma_f64 v[128:129], v[108:109], s[20:21], v[118:119]
	v_add_f64 v[110:111], v[110:111], v[116:117]
	v_mul_f64 v[116:117], v[98:99], s[24:25]
	v_add_f64 v[100:101], v[128:129], v[100:101]
	v_fma_f64 v[118:119], v[12:13], s[26:27], v[116:117]
	v_fma_f64 v[116:117], v[12:13], s[26:27], -v[116:117]
	v_add_f64 v[10:11], v[118:119], v[10:11]
	v_mul_f64 v[118:119], v[14:15], s[26:27]
	v_add_f64 v[8:9], v[116:117], v[8:9]
	v_fma_f64 v[116:117], v[108:109], s[24:25], v[118:119]
	v_fma_f64 v[128:129], v[108:109], s[28:29], v[118:119]
	v_add_f64 v[16:17], v[116:117], v[16:17]
	v_mul_f64 v[116:117], v[98:99], s[54:55]
	v_add_f64 v[18:19], v[128:129], v[18:19]
	v_fma_f64 v[118:119], v[12:13], s[52:53], v[116:117]
	v_fma_f64 v[116:117], v[12:13], s[52:53], -v[116:117]
	v_add_f64 v[22:23], v[118:119], v[22:23]
	v_mul_f64 v[118:119], v[14:15], s[52:53]
	v_add_f64 v[20:21], v[116:117], v[20:21]
	v_fma_f64 v[116:117], v[108:109], s[54:55], v[118:119]
	v_fma_f64 v[128:129], v[108:109], s[50:51], v[118:119]
	v_add_f64 v[24:25], v[116:117], v[24:25]
	v_mul_f64 v[116:117], v[98:99], s[16:17]
	v_add_f64 v[26:27], v[128:129], v[26:27]
	v_fma_f64 v[118:119], v[12:13], s[14:15], v[116:117]
	v_fma_f64 v[116:117], v[12:13], s[14:15], -v[116:117]
	v_add_f64 v[30:31], v[118:119], v[30:31]
	v_mul_f64 v[118:119], v[14:15], s[14:15]
	v_add_f64 v[28:29], v[116:117], v[28:29]
	v_fma_f64 v[116:117], v[108:109], s[16:17], v[118:119]
	v_fma_f64 v[128:129], v[108:109], s[10:11], v[118:119]
	v_add_f64 v[32:33], v[116:117], v[32:33]
	v_mul_f64 v[116:117], v[98:99], s[34:35]
	v_add_f64 v[34:35], v[128:129], v[34:35]
	v_fma_f64 v[118:119], v[12:13], s[30:31], v[116:117]
	v_fma_f64 v[116:117], v[12:13], s[30:31], -v[116:117]
	v_add_f64 v[38:39], v[118:119], v[38:39]
	v_mul_f64 v[118:119], v[14:15], s[30:31]
	v_add_f64 v[36:37], v[116:117], v[36:37]
	v_fma_f64 v[116:117], v[108:109], s[34:35], v[118:119]
	v_fma_f64 v[128:129], v[108:109], s[36:37], v[118:119]
	v_add_f64 v[40:41], v[116:117], v[40:41]
	v_mul_f64 v[116:117], v[98:99], s[48:49]
	v_add_f64 v[42:43], v[128:129], v[42:43]
	v_fma_f64 v[118:119], v[12:13], s[44:45], v[116:117]
	v_fma_f64 v[116:117], v[12:13], s[44:45], -v[116:117]
	v_add_f64 v[46:47], v[118:119], v[46:47]
	v_mul_f64 v[118:119], v[14:15], s[44:45]
	v_add_f64 v[44:45], v[116:117], v[44:45]
	v_fma_f64 v[116:117], v[108:109], s[48:49], v[118:119]
	v_fma_f64 v[128:129], v[108:109], s[46:47], v[118:119]
	v_add_f64 v[48:49], v[116:117], v[48:49]
	v_mul_f64 v[116:117], v[98:99], s[8:9]
	v_mul_f64 v[98:99], v[98:99], s[38:39]
	v_add_f64 v[50:51], v[128:129], v[50:51]
	v_fma_f64 v[118:119], v[12:13], s[2:3], v[116:117]
	v_fma_f64 v[116:117], v[12:13], s[2:3], -v[116:117]
	v_add_f64 v[54:55], v[118:119], v[54:55]
	v_mul_f64 v[118:119], v[14:15], s[2:3]
	v_add_f64 v[52:53], v[116:117], v[52:53]
	v_mul_f64 v[14:15], v[14:15], s[40:41]
	v_fma_f64 v[128:129], v[108:109], s[0:1], v[118:119]
	v_fma_f64 v[116:117], v[108:109], s[8:9], v[118:119]
	;; [unrolled: 1-line block ×3, first 2 shown]
	v_fma_f64 v[12:13], v[12:13], s[40:41], -v[98:99]
	v_add_f64 v[122:123], v[128:129], v[122:123]
	v_add_f64 v[116:117], v[116:117], v[120:121]
	v_fma_f64 v[120:121], v[108:109], s[42:43], v[14:15]
	v_add_f64 v[6:7], v[12:13], v[6:7]
	v_fma_f64 v[12:13], v[108:109], s[38:39], v[14:15]
	v_add_f64 v[14:15], v[178:179], v[90:91]
	v_add_f64 v[118:119], v[118:119], v[124:125]
	;; [unrolled: 1-line block ×5, first 2 shown]
	v_add_f64 v[0:1], v[0:1], -v[2:3]
	v_add_f64 v[2:3], v[178:179], -v[90:91]
	v_mul_f64 v[108:109], v[14:15], s[2:3]
	v_add_f64 v[178:179], v[72:73], -v[74:75]
	v_mul_f64 v[90:91], v[2:3], s[8:9]
	v_fma_f64 v[98:99], v[12:13], s[2:3], v[90:91]
	v_fma_f64 v[90:91], v[12:13], s[2:3], -v[90:91]
	v_add_f64 v[98:99], v[98:99], v[114:115]
	v_fma_f64 v[114:115], v[0:1], s[0:1], v[108:109]
	v_add_f64 v[90:91], v[90:91], v[102:103]
	v_fma_f64 v[102:103], v[0:1], s[8:9], v[108:109]
	v_mul_f64 v[108:109], v[2:3], s[50:51]
	v_add_f64 v[100:101], v[114:115], v[100:101]
	v_add_f64 v[102:103], v[102:103], v[110:111]
	v_fma_f64 v[110:111], v[12:13], s[52:53], v[108:109]
	v_fma_f64 v[108:109], v[12:13], s[52:53], -v[108:109]
	v_add_f64 v[10:11], v[110:111], v[10:11]
	v_mul_f64 v[110:111], v[14:15], s[52:53]
	v_add_f64 v[8:9], v[108:109], v[8:9]
	v_fma_f64 v[108:109], v[0:1], s[50:51], v[110:111]
	v_fma_f64 v[114:115], v[0:1], s[54:55], v[110:111]
	v_add_f64 v[16:17], v[108:109], v[16:17]
	v_mul_f64 v[108:109], v[2:3], s[16:17]
	v_add_f64 v[18:19], v[114:115], v[18:19]
	v_fma_f64 v[110:111], v[12:13], s[14:15], v[108:109]
	v_fma_f64 v[108:109], v[12:13], s[14:15], -v[108:109]
	v_add_f64 v[22:23], v[110:111], v[22:23]
	v_mul_f64 v[110:111], v[14:15], s[14:15]
	v_add_f64 v[20:21], v[108:109], v[20:21]
	v_fma_f64 v[108:109], v[0:1], s[16:17], v[110:111]
	v_fma_f64 v[114:115], v[0:1], s[10:11], v[110:111]
	v_add_f64 v[24:25], v[108:109], v[24:25]
	v_mul_f64 v[108:109], v[2:3], s[46:47]
	;; [unrolled: 10-line block ×5, first 2 shown]
	v_mul_f64 v[2:3], v[2:3], s[34:35]
	v_add_f64 v[50:51], v[114:115], v[50:51]
	v_fma_f64 v[110:111], v[12:13], s[26:27], v[108:109]
	v_fma_f64 v[108:109], v[12:13], s[26:27], -v[108:109]
	v_add_f64 v[54:55], v[110:111], v[54:55]
	v_mul_f64 v[110:111], v[14:15], s[26:27]
	v_add_f64 v[52:53], v[108:109], v[52:53]
	v_mul_f64 v[14:15], v[14:15], s[30:31]
	v_fma_f64 v[108:109], v[0:1], s[28:29], v[110:111]
	v_fma_f64 v[114:115], v[0:1], s[24:25], v[110:111]
	;; [unrolled: 1-line block ×3, first 2 shown]
	v_fma_f64 v[2:3], v[12:13], s[30:31], -v[2:3]
	v_add_f64 v[12:13], v[176:177], -v[96:97]
	v_add_f64 v[108:109], v[108:109], v[116:117]
	v_fma_f64 v[116:117], v[0:1], s[36:37], v[14:15]
	v_fma_f64 v[0:1], v[0:1], s[34:35], v[14:15]
	v_add_f64 v[14:15], v[112:113], -v[88:89]
	v_add_f64 v[2:3], v[2:3], v[6:7]
	v_add_f64 v[6:7], v[112:113], v[88:89]
	;; [unrolled: 1-line block ×7, first 2 shown]
	v_mul_f64 v[88:89], v[14:15], s[10:11]
	v_fma_f64 v[96:97], v[4:5], s[14:15], v[88:89]
	v_fma_f64 v[88:89], v[4:5], s[14:15], -v[88:89]
	v_add_f64 v[96:97], v[96:97], v[98:99]
	v_mul_f64 v[98:99], v[6:7], s[14:15]
	v_add_f64 v[88:89], v[88:89], v[90:91]
	v_fma_f64 v[112:113], v[12:13], s[16:17], v[98:99]
	v_fma_f64 v[90:91], v[12:13], s[10:11], v[98:99]
	v_mul_f64 v[98:99], v[14:15], s[42:43]
	v_add_f64 v[100:101], v[112:113], v[100:101]
	v_add_f64 v[90:91], v[90:91], v[102:103]
	v_fma_f64 v[102:103], v[4:5], s[40:41], v[98:99]
	v_fma_f64 v[98:99], v[4:5], s[40:41], -v[98:99]
	v_add_f64 v[10:11], v[102:103], v[10:11]
	v_mul_f64 v[102:103], v[6:7], s[40:41]
	v_add_f64 v[8:9], v[98:99], v[8:9]
	v_fma_f64 v[98:99], v[12:13], s[42:43], v[102:103]
	v_fma_f64 v[112:113], v[12:13], s[38:39], v[102:103]
	v_add_f64 v[16:17], v[98:99], v[16:17]
	v_mul_f64 v[98:99], v[14:15], s[34:35]
	v_add_f64 v[18:19], v[112:113], v[18:19]
	v_fma_f64 v[102:103], v[4:5], s[30:31], v[98:99]
	v_fma_f64 v[98:99], v[4:5], s[30:31], -v[98:99]
	v_add_f64 v[22:23], v[102:103], v[22:23]
	v_mul_f64 v[102:103], v[6:7], s[30:31]
	v_add_f64 v[20:21], v[98:99], v[20:21]
	v_fma_f64 v[98:99], v[12:13], s[34:35], v[102:103]
	v_fma_f64 v[112:113], v[12:13], s[36:37], v[102:103]
	v_add_f64 v[24:25], v[98:99], v[24:25]
	v_mul_f64 v[98:99], v[14:15], s[22:23]
	;; [unrolled: 10-line block ×5, first 2 shown]
	v_mul_f64 v[14:15], v[14:15], s[24:25]
	v_add_f64 v[50:51], v[112:113], v[50:51]
	v_fma_f64 v[102:103], v[4:5], s[44:45], v[98:99]
	v_fma_f64 v[98:99], v[4:5], s[44:45], -v[98:99]
	v_add_f64 v[54:55], v[102:103], v[54:55]
	v_mul_f64 v[102:103], v[6:7], s[44:45]
	v_add_f64 v[52:53], v[98:99], v[52:53]
	v_mul_f64 v[6:7], v[6:7], s[26:27]
	v_fma_f64 v[112:113], v[12:13], s[46:47], v[102:103]
	v_fma_f64 v[98:99], v[12:13], s[48:49], v[102:103]
	;; [unrolled: 1-line block ×3, first 2 shown]
	v_fma_f64 v[4:5], v[4:5], s[26:27], -v[14:15]
	v_add_f64 v[14:15], v[94:95], -v[86:87]
	v_add_f64 v[112:113], v[112:113], v[114:115]
	v_add_f64 v[98:99], v[98:99], v[108:109]
	v_fma_f64 v[108:109], v[12:13], s[28:29], v[6:7]
	v_add_f64 v[2:3], v[4:5], v[2:3]
	v_fma_f64 v[4:5], v[12:13], s[24:25], v[6:7]
	v_add_f64 v[6:7], v[94:95], v[86:87]
	v_mul_f64 v[86:87], v[14:15], s[24:25]
	v_add_f64 v[12:13], v[104:105], -v[106:107]
	v_add_f64 v[102:103], v[102:103], v[110:111]
	v_add_f64 v[108:109], v[108:109], v[116:117]
	v_add_f64 v[0:1], v[4:5], v[0:1]
	v_add_f64 v[4:5], v[104:105], v[106:107]
	v_fma_f64 v[94:95], v[4:5], s[26:27], v[86:87]
	v_fma_f64 v[86:87], v[4:5], s[26:27], -v[86:87]
	v_add_f64 v[94:95], v[94:95], v[96:97]
	v_mul_f64 v[96:97], v[6:7], s[26:27]
	v_add_f64 v[86:87], v[86:87], v[88:89]
	v_fma_f64 v[88:89], v[12:13], s[24:25], v[96:97]
	v_fma_f64 v[104:105], v[12:13], s[28:29], v[96:97]
	v_add_f64 v[88:89], v[88:89], v[90:91]
	v_mul_f64 v[90:91], v[14:15], s[16:17]
	v_add_f64 v[100:101], v[104:105], v[100:101]
	v_fma_f64 v[96:97], v[4:5], s[14:15], v[90:91]
	v_fma_f64 v[90:91], v[4:5], s[14:15], -v[90:91]
	v_add_f64 v[10:11], v[96:97], v[10:11]
	v_mul_f64 v[96:97], v[6:7], s[14:15]
	v_add_f64 v[8:9], v[90:91], v[8:9]
	v_fma_f64 v[90:91], v[12:13], s[16:17], v[96:97]
	v_fma_f64 v[104:105], v[12:13], s[10:11], v[96:97]
	v_add_f64 v[16:17], v[90:91], v[16:17]
	v_mul_f64 v[90:91], v[14:15], s[48:49]
	v_add_f64 v[18:19], v[104:105], v[18:19]
	;; [unrolled: 10-line block ×5, first 2 shown]
	v_fma_f64 v[96:97], v[4:5], s[30:31], v[90:91]
	v_fma_f64 v[90:91], v[4:5], s[30:31], -v[90:91]
	v_add_f64 v[46:47], v[96:97], v[46:47]
	v_mul_f64 v[96:97], v[6:7], s[30:31]
	v_add_f64 v[44:45], v[90:91], v[44:45]
	v_fma_f64 v[90:91], v[12:13], s[36:37], v[96:97]
	v_fma_f64 v[104:105], v[12:13], s[34:35], v[96:97]
	v_add_f64 v[48:49], v[90:91], v[48:49]
	v_mul_f64 v[90:91], v[14:15], s[50:51]
	v_mul_f64 v[14:15], v[14:15], s[20:21]
	v_add_f64 v[50:51], v[104:105], v[50:51]
	v_fma_f64 v[96:97], v[4:5], s[52:53], v[90:91]
	v_fma_f64 v[90:91], v[4:5], s[52:53], -v[90:91]
	v_add_f64 v[54:55], v[96:97], v[54:55]
	v_mul_f64 v[96:97], v[6:7], s[52:53]
	v_add_f64 v[52:53], v[90:91], v[52:53]
	v_mul_f64 v[6:7], v[6:7], s[18:19]
	v_fma_f64 v[90:91], v[12:13], s[50:51], v[96:97]
	v_fma_f64 v[104:105], v[12:13], s[54:55], v[96:97]
	v_add_f64 v[118:119], v[90:91], v[98:99]
	v_fma_f64 v[90:91], v[4:5], s[18:19], v[14:15]
	v_fma_f64 v[4:5], v[4:5], s[18:19], -v[14:15]
	v_add_f64 v[14:15], v[84:85], -v[80:81]
	v_add_f64 v[116:117], v[104:105], v[112:113]
	v_add_f64 v[120:121], v[90:91], v[102:103]
	;; [unrolled: 1-line block ×3, first 2 shown]
	v_fma_f64 v[4:5], v[12:13], s[20:21], v[6:7]
	v_fma_f64 v[90:91], v[12:13], s[22:23], v[6:7]
	v_add_f64 v[6:7], v[84:85], v[80:81]
	v_mul_f64 v[80:81], v[14:15], s[38:39]
	v_add_f64 v[12:13], v[92:93], -v[82:83]
	v_add_f64 v[0:1], v[4:5], v[0:1]
	v_add_f64 v[4:5], v[92:93], v[82:83]
	v_add_f64 v[124:125], v[90:91], v[108:109]
	v_fma_f64 v[82:83], v[4:5], s[40:41], v[80:81]
	v_fma_f64 v[80:81], v[4:5], s[40:41], -v[80:81]
	v_add_f64 v[84:85], v[82:83], v[94:95]
	v_mul_f64 v[82:83], v[6:7], s[40:41]
	v_add_f64 v[86:87], v[80:81], v[86:87]
	v_fma_f64 v[80:81], v[12:13], s[38:39], v[82:83]
	v_fma_f64 v[90:91], v[12:13], s[42:43], v[82:83]
	v_add_f64 v[182:183], v[80:81], v[88:89]
	v_mul_f64 v[80:81], v[14:15], s[20:21]
	v_add_f64 v[180:181], v[90:91], v[100:101]
	v_fma_f64 v[82:83], v[4:5], s[18:19], v[80:81]
	v_fma_f64 v[80:81], v[4:5], s[18:19], -v[80:81]
	v_add_f64 v[10:11], v[82:83], v[10:11]
	v_mul_f64 v[82:83], v[6:7], s[18:19]
	v_add_f64 v[80:81], v[80:81], v[8:9]
	v_fma_f64 v[8:9], v[12:13], s[20:21], v[82:83]
	v_fma_f64 v[88:89], v[12:13], s[22:23], v[82:83]
	v_add_f64 v[82:83], v[8:9], v[16:17]
	v_mul_f64 v[8:9], v[14:15], s[8:9]
	v_add_f64 v[18:19], v[88:89], v[18:19]
	;; [unrolled: 10-line block ×6, first 2 shown]
	v_fma_f64 v[16:17], v[4:5], s[30:31], v[8:9]
	v_fma_f64 v[8:9], v[4:5], s[30:31], -v[8:9]
	v_add_f64 v[172:173], v[16:17], v[54:55]
	v_mul_f64 v[16:17], v[6:7], s[30:31]
	v_add_f64 v[128:129], v[8:9], v[52:53]
	v_mul_f64 v[6:7], v[6:7], s[14:15]
	v_fma_f64 v[8:9], v[12:13], s[34:35], v[16:17]
	v_fma_f64 v[20:21], v[12:13], s[36:37], v[16:17]
	v_add_f64 v[126:127], v[8:9], v[118:119]
	v_mul_f64 v[8:9], v[14:15], s[10:11]
	v_add_f64 v[130:131], v[20:21], v[116:117]
	v_add_f64 v[118:119], v[76:77], v[78:79]
	v_fma_f64 v[14:15], v[4:5], s[14:15], v[8:9]
	v_fma_f64 v[4:5], v[4:5], s[14:15], -v[8:9]
	v_add_f64 v[122:123], v[14:15], v[120:121]
	v_add_f64 v[2:3], v[4:5], v[2:3]
	v_fma_f64 v[4:5], v[12:13], s[10:11], v[6:7]
	v_fma_f64 v[14:15], v[12:13], s[16:17], v[6:7]
	v_add_f64 v[116:117], v[4:5], v[0:1]
	v_mul_f64 v[4:5], v[178:179], s[50:51]
	v_add_f64 v[120:121], v[14:15], v[124:125]
	v_add_f64 v[124:125], v[72:73], v[74:75]
	v_add_f64 v[0:1], v[76:77], -v[78:79]
	v_fma_f64 v[6:7], v[118:119], s[52:53], v[4:5]
	v_fma_f64 v[4:5], v[118:119], s[52:53], -v[4:5]
	v_add_f64 v[76:77], v[6:7], v[84:85]
	v_mul_f64 v[6:7], v[124:125], s[52:53]
	v_add_f64 v[72:73], v[4:5], v[86:87]
	v_fma_f64 v[4:5], v[0:1], s[50:51], v[6:7]
	v_fma_f64 v[8:9], v[0:1], s[54:55], v[6:7]
	v_add_f64 v[74:75], v[4:5], v[182:183]
	v_mul_f64 v[4:5], v[178:179], s[46:47]
	v_add_f64 v[78:79], v[8:9], v[180:181]
	v_fma_f64 v[6:7], v[118:119], s[44:45], v[4:5]
	v_fma_f64 v[4:5], v[118:119], s[44:45], -v[4:5]
	v_add_f64 v[84:85], v[6:7], v[10:11]
	v_mul_f64 v[6:7], v[124:125], s[44:45]
	v_add_f64 v[80:81], v[4:5], v[80:81]
	v_fma_f64 v[4:5], v[0:1], s[46:47], v[6:7]
	v_fma_f64 v[8:9], v[0:1], s[48:49], v[6:7]
	v_add_f64 v[82:83], v[4:5], v[82:83]
	v_mul_f64 v[4:5], v[178:179], s[38:39]
	v_add_f64 v[86:87], v[8:9], v[18:19]
	;; [unrolled: 10-line block ×6, first 2 shown]
	v_fma_f64 v[6:7], v[118:119], s[14:15], v[4:5]
	v_fma_f64 v[4:5], v[118:119], s[14:15], -v[4:5]
	v_add_f64 v[172:173], v[6:7], v[172:173]
	v_mul_f64 v[6:7], v[124:125], s[14:15]
	v_add_f64 v[128:129], v[4:5], v[128:129]
	v_fma_f64 v[8:9], v[0:1], s[16:17], v[6:7]
	v_fma_f64 v[4:5], v[0:1], s[10:11], v[6:7]
	v_add_f64 v[174:175], v[8:9], v[130:131]
	v_add_f64 v[130:131], v[4:5], v[126:127]
	v_mul_f64 v[4:5], v[178:179], s[0:1]
	v_fma_f64 v[6:7], v[118:119], s[2:3], v[4:5]
	v_fma_f64 v[4:5], v[118:119], s[2:3], -v[4:5]
	v_add_f64 v[122:123], v[6:7], v[122:123]
	v_mul_f64 v[6:7], v[124:125], s[2:3]
	v_add_f64 v[118:119], v[4:5], v[2:3]
	v_fma_f64 v[8:9], v[0:1], s[8:9], v[6:7]
	v_fma_f64 v[0:1], v[0:1], s[0:1], v[6:7]
	v_add_f64 v[124:125], v[8:9], v[120:121]
	v_add_f64 v[120:121], v[0:1], v[116:117]
	ds_write_b128 v244, v[68:71]
	ds_write_b128 v244, v[76:79] offset:272
	ds_write_b128 v244, v[84:87] offset:544
	;; [unrolled: 1-line block ×16, first 2 shown]
	s_waitcnt lgkmcnt(0)
	s_barrier
	buffer_gl0_inv
	ds_read_b128 v[68:71], v255
	ds_read_b128 v[104:107], v255 offset:4624
	ds_read_b128 v[76:79], v255 offset:544
	;; [unrolled: 1-line block ×15, first 2 shown]
	s_and_saveexec_b32 s0, vcc_lo
	s_cbranch_execz .LBB0_7
; %bb.6:
	ds_read_b128 v[72:75], v255 offset:4352
	ds_read_b128 v[168:171], v255 offset:8976
.LBB0_7:
	s_or_b32 exec_lo, exec_lo, s0
	s_waitcnt lgkmcnt(14)
	v_mul_f64 v[0:1], v[142:143], v[106:107]
	v_mul_f64 v[2:3], v[142:143], v[104:105]
	s_waitcnt lgkmcnt(12)
	v_mul_f64 v[4:5], v[138:139], v[110:111]
	v_mul_f64 v[6:7], v[138:139], v[108:109]
	;; [unrolled: 3-line block ×8, first 2 shown]
	v_fma_f64 v[0:1], v[140:141], v[104:105], v[0:1]
	v_fma_f64 v[2:3], v[140:141], v[106:107], -v[2:3]
	v_fma_f64 v[4:5], v[136:137], v[108:109], v[4:5]
	v_fma_f64 v[6:7], v[136:137], v[110:111], -v[6:7]
	;; [unrolled: 2-line block ×8, first 2 shown]
	v_add_f64 v[0:1], v[68:69], -v[0:1]
	v_add_f64 v[2:3], v[70:71], -v[2:3]
	;; [unrolled: 1-line block ×16, first 2 shown]
	v_fma_f64 v[68:69], v[68:69], 2.0, -v[0:1]
	v_fma_f64 v[70:71], v[70:71], 2.0, -v[2:3]
	;; [unrolled: 1-line block ×16, first 2 shown]
	ds_write_b128 v255, v[68:71]
	ds_write_b128 v225, v[0:3] offset:4624
	ds_write_b128 v255, v[76:79] offset:544
	;; [unrolled: 1-line block ×14, first 2 shown]
	v_add_nc_u32_e32 v0, 0xee0, v255
	ds_write_b128 v0, v[128:131] offset:4624
	s_and_saveexec_b32 s0, vcc_lo
	s_cbranch_execz .LBB0_9
; %bb.8:
	v_mul_f64 v[0:1], v[134:135], v[168:169]
	v_mul_f64 v[2:3], v[134:135], v[170:171]
	v_fma_f64 v[0:1], v[132:133], v[170:171], -v[0:1]
	v_fma_f64 v[4:5], v[132:133], v[168:169], v[2:3]
	v_add_f64 v[2:3], v[74:75], -v[0:1]
	v_add_f64 v[0:1], v[72:73], -v[4:5]
	v_fma_f64 v[70:71], v[74:75], 2.0, -v[2:3]
	v_fma_f64 v[68:69], v[72:73], 2.0, -v[0:1]
	ds_write_b128 v255, v[68:71] offset:4352
	ds_write_b128 v225, v[0:3] offset:8976
.LBB0_9:
	s_or_b32 exec_lo, exec_lo, s0
	s_waitcnt lgkmcnt(0)
	s_barrier
	buffer_gl0_inv
	ds_read_b128 v[0:3], v255
	ds_read_b128 v[68:71], v255 offset:544
	ds_read_b128 v[72:75], v255 offset:1088
	buffer_load_dword v22, off, s[64:67], 0 ; 4-byte Folded Reload
	ds_read_b128 v[76:79], v255 offset:1632
	ds_read_b128 v[80:83], v255 offset:2176
	s_clause 0x3
	buffer_load_dword v30, off, s[64:67], 0 offset:4
	buffer_load_dword v31, off, s[64:67], 0 offset:8
	;; [unrolled: 1-line block ×4, first 2 shown]
	v_mad_u64_u32 v[4:5], null, s6, v220, 0
	s_mov_b32 s0, 0xd10d4986
	s_mov_b32 s1, 0x3f5c5894
	s_mul_i32 s3, s5, 0x220
	s_mul_hi_u32 s6, s4, 0x220
	s_mul_i32 s2, s4, 0x220
	s_add_i32 s3, s6, s3
	s_waitcnt vmcnt(4)
	v_mad_u64_u32 v[6:7], null, s4, v22, 0
	s_waitcnt vmcnt(0) lgkmcnt(4)
	v_mul_f64 v[8:9], v[32:33], v[2:3]
	v_mul_f64 v[10:11], v[32:33], v[0:1]
	s_clause 0x3
	buffer_load_dword v32, off, s[64:67], 0 offset:20
	buffer_load_dword v33, off, s[64:67], 0 offset:24
	;; [unrolled: 1-line block ×4, first 2 shown]
	v_mad_u64_u32 v[20:21], null, s7, v220, v[5:6]
	v_mov_b32_e32 v5, v20
	v_lshlrev_b64 v[4:5], 4, v[4:5]
	v_mad_u64_u32 v[21:22], null, s5, v22, v[7:8]
	v_fma_f64 v[0:1], v[30:31], v[0:1], v[8:9]
	v_fma_f64 v[2:3], v[30:31], v[2:3], -v[10:11]
	v_add_co_u32 v4, vcc_lo, s12, v4
	v_add_co_ci_u32_e32 v5, vcc_lo, s13, v5, vcc_lo
	v_mov_b32_e32 v7, v21
	v_lshlrev_b64 v[6:7], 4, v[6:7]
	v_mul_f64 v[0:1], v[0:1], s[0:1]
	v_mul_f64 v[2:3], v[2:3], s[0:1]
	s_waitcnt vmcnt(0) lgkmcnt(3)
	v_mul_f64 v[12:13], v[34:35], v[70:71]
	v_mul_f64 v[14:15], v[34:35], v[68:69]
	s_clause 0x3
	buffer_load_dword v34, off, s[64:67], 0 offset:36
	buffer_load_dword v35, off, s[64:67], 0 offset:40
	;; [unrolled: 1-line block ×4, first 2 shown]
	ds_read_b128 v[84:87], v255 offset:2720
	ds_read_b128 v[88:91], v255 offset:3264
	;; [unrolled: 1-line block ×4, first 2 shown]
	v_fma_f64 v[8:9], v[32:33], v[68:69], v[12:13]
	v_fma_f64 v[10:11], v[32:33], v[70:71], -v[14:15]
	s_waitcnt vmcnt(0) lgkmcnt(6)
	v_mul_f64 v[16:17], v[36:37], v[74:75]
	v_mul_f64 v[18:19], v[36:37], v[72:73]
	s_clause 0x3
	buffer_load_dword v36, off, s[64:67], 0 offset:52
	buffer_load_dword v37, off, s[64:67], 0 offset:56
	buffer_load_dword v38, off, s[64:67], 0 offset:60
	buffer_load_dword v39, off, s[64:67], 0 offset:64
	v_fma_f64 v[12:13], v[34:35], v[72:73], v[16:17]
	v_fma_f64 v[14:15], v[34:35], v[74:75], -v[18:19]
	v_add_co_u32 v34, vcc_lo, v4, v6
	v_add_co_ci_u32_e32 v35, vcc_lo, v5, v7, vcc_lo
	v_mul_f64 v[4:5], v[8:9], s[0:1]
	v_mul_f64 v[6:7], v[10:11], s[0:1]
	;; [unrolled: 1-line block ×4, first 2 shown]
	s_waitcnt vmcnt(0) lgkmcnt(5)
	v_mul_f64 v[22:23], v[38:39], v[78:79]
	v_mul_f64 v[24:25], v[38:39], v[76:77]
	s_clause 0x3
	buffer_load_dword v38, off, s[64:67], 0 offset:68
	buffer_load_dword v39, off, s[64:67], 0 offset:72
	;; [unrolled: 1-line block ×4, first 2 shown]
	v_fma_f64 v[12:13], v[36:37], v[76:77], v[22:23]
	v_fma_f64 v[14:15], v[36:37], v[78:79], -v[24:25]
	v_add_co_u32 v24, vcc_lo, v34, s2
	v_add_co_ci_u32_e32 v25, vcc_lo, s3, v35, vcc_lo
	v_add_co_u32 v36, vcc_lo, v24, s2
	v_add_co_ci_u32_e32 v37, vcc_lo, s3, v25, vcc_lo
	s_waitcnt vmcnt(0) lgkmcnt(4)
	v_mul_f64 v[26:27], v[40:41], v[82:83]
	v_mul_f64 v[28:29], v[40:41], v[80:81]
	s_clause 0x3
	buffer_load_dword v40, off, s[64:67], 0 offset:84
	buffer_load_dword v41, off, s[64:67], 0 offset:88
	;; [unrolled: 1-line block ×4, first 2 shown]
	v_fma_f64 v[26:27], v[38:39], v[80:81], v[26:27]
	v_fma_f64 v[28:29], v[38:39], v[82:83], -v[28:29]
	s_waitcnt vmcnt(0) lgkmcnt(3)
	v_mul_f64 v[16:17], v[42:43], v[86:87]
	v_mul_f64 v[18:19], v[42:43], v[84:85]
	s_clause 0x3
	buffer_load_dword v42, off, s[64:67], 0 offset:116
	buffer_load_dword v43, off, s[64:67], 0 offset:120
	;; [unrolled: 1-line block ×4, first 2 shown]
	v_fma_f64 v[16:17], v[40:41], v[84:85], v[16:17]
	v_fma_f64 v[18:19], v[40:41], v[86:87], -v[18:19]
	s_waitcnt vmcnt(0) lgkmcnt(2)
	v_mul_f64 v[20:21], v[44:45], v[90:91]
	v_mul_f64 v[30:31], v[44:45], v[88:89]
	s_clause 0x3
	buffer_load_dword v44, off, s[64:67], 0 offset:132
	buffer_load_dword v45, off, s[64:67], 0 offset:136
	;; [unrolled: 1-line block ×4, first 2 shown]
	global_store_dwordx4 v[34:35], v[0:3], off
	global_store_dwordx4 v[24:25], v[4:7], off
	global_store_dwordx4 v[36:37], v[8:11], off
	ds_read_b128 v[4:7], v255 offset:4896
	v_mul_f64 v[0:1], v[12:13], s[0:1]
	v_mul_f64 v[2:3], v[14:15], s[0:1]
	;; [unrolled: 1-line block ×6, first 2 shown]
	v_add_co_u32 v34, vcc_lo, v36, s2
	v_add_co_ci_u32_e32 v35, vcc_lo, s3, v37, vcc_lo
	v_fma_f64 v[20:21], v[42:43], v[88:89], v[20:21]
	v_fma_f64 v[30:31], v[42:43], v[90:91], -v[30:31]
	s_clause 0x3
	buffer_load_dword v40, off, s[64:67], 0 offset:180
	buffer_load_dword v41, off, s[64:67], 0 offset:184
	buffer_load_dword v42, off, s[64:67], 0 offset:188
	buffer_load_dword v43, off, s[64:67], 0 offset:192
	v_mul_f64 v[16:17], v[20:21], s[0:1]
	v_mul_f64 v[18:19], v[30:31], s[0:1]
	s_waitcnt vmcnt(4) lgkmcnt(2)
	v_mul_f64 v[22:23], v[46:47], v[92:93]
	v_mul_f64 v[32:33], v[46:47], v[94:95]
	v_fma_f64 v[30:31], v[44:45], v[94:95], -v[22:23]
	ds_read_b128 v[20:23], v255 offset:5440
	s_clause 0x3
	buffer_load_dword v50, off, s[64:67], 0 offset:100
	buffer_load_dword v51, off, s[64:67], 0 offset:104
	;; [unrolled: 1-line block ×4, first 2 shown]
	s_waitcnt vmcnt(4) lgkmcnt(2)
	v_mul_f64 v[24:25], v[42:43], v[98:99]
	v_mul_f64 v[26:27], v[42:43], v[96:97]
	v_fma_f64 v[28:29], v[44:45], v[92:93], v[32:33]
	v_add_co_u32 v32, vcc_lo, v34, s2
	v_add_co_ci_u32_e32 v33, vcc_lo, s3, v35, vcc_lo
	global_store_dwordx4 v[34:35], v[0:3], off
	global_store_dwordx4 v[32:33], v[8:11], off
	v_add_co_u32 v36, vcc_lo, v32, s2
	v_add_co_ci_u32_e32 v37, vcc_lo, s3, v33, vcc_lo
	ds_read_b128 v[0:3], v255 offset:5984
	v_add_co_u32 v38, vcc_lo, v36, s2
	v_add_co_ci_u32_e32 v39, vcc_lo, s3, v37, vcc_lo
	global_store_dwordx4 v[36:37], v[12:15], off
	global_store_dwordx4 v[38:39], v[16:19], off
	v_fma_f64 v[24:25], v[40:41], v[96:97], v[24:25]
	v_fma_f64 v[40:41], v[40:41], v[98:99], -v[26:27]
	v_mul_f64 v[8:9], v[28:29], s[0:1]
	v_mul_f64 v[10:11], v[30:31], s[0:1]
	v_add_co_u32 v38, vcc_lo, v38, s2
	v_add_co_ci_u32_e32 v39, vcc_lo, s3, v39, vcc_lo
	v_mul_f64 v[42:43], v[24:25], s[0:1]
	v_mul_f64 v[44:45], v[40:41], s[0:1]
	s_waitcnt vmcnt(0) lgkmcnt(2)
	v_mul_f64 v[46:47], v[52:53], v[6:7]
	v_mul_f64 v[48:49], v[52:53], v[4:5]
	s_clause 0x3
	buffer_load_dword v52, off, s[64:67], 0 offset:164
	buffer_load_dword v53, off, s[64:67], 0 offset:168
	;; [unrolled: 1-line block ×4, first 2 shown]
	ds_read_b128 v[12:15], v255 offset:6528
	ds_read_b128 v[16:19], v255 offset:7072
	;; [unrolled: 1-line block ×5, first 2 shown]
	s_clause 0x3
	buffer_load_dword v74, off, s[64:67], 0 offset:148
	buffer_load_dword v75, off, s[64:67], 0 offset:152
	;; [unrolled: 1-line block ×4, first 2 shown]
	v_fma_f64 v[4:5], v[50:51], v[4:5], v[46:47]
	v_fma_f64 v[6:7], v[50:51], v[6:7], -v[48:49]
	v_add_co_u32 v46, vcc_lo, v38, s2
	s_waitcnt lgkmcnt(0)
	v_mul_f64 v[72:73], v[66:67], v[70:71]
	v_mul_f64 v[66:67], v[66:67], v[68:69]
	v_add_co_ci_u32_e32 v47, vcc_lo, s3, v39, vcc_lo
	v_mul_f64 v[4:5], v[4:5], s[0:1]
	v_mul_f64 v[6:7], v[6:7], s[0:1]
	s_waitcnt vmcnt(4)
	v_mul_f64 v[34:35], v[54:55], v[22:23]
	v_mul_f64 v[36:37], v[54:55], v[20:21]
	;; [unrolled: 1-line block ×3, first 2 shown]
	s_waitcnt vmcnt(0)
	v_mul_f64 v[24:25], v[76:77], v[2:3]
	v_mul_f64 v[40:41], v[76:77], v[0:1]
	s_clause 0x3
	buffer_load_dword v76, off, s[64:67], 0 offset:196
	buffer_load_dword v77, off, s[64:67], 0 offset:200
	;; [unrolled: 1-line block ×4, first 2 shown]
	v_fma_f64 v[20:21], v[52:53], v[20:21], v[34:35]
	v_fma_f64 v[22:23], v[52:53], v[22:23], -v[36:37]
	v_mul_f64 v[52:53], v[58:59], v[28:29]
	v_mul_f64 v[58:59], v[62:63], v[32:33]
	;; [unrolled: 1-line block ×3, first 2 shown]
	s_waitcnt vmcnt(0)
	v_mul_f64 v[48:49], v[78:79], v[14:15]
	v_mul_f64 v[50:51], v[78:79], v[12:13]
	s_clause 0x3
	buffer_load_dword v78, off, s[64:67], 0 offset:212
	buffer_load_dword v79, off, s[64:67], 0 offset:216
	;; [unrolled: 1-line block ×4, first 2 shown]
	global_store_dwordx4 v[38:39], v[8:11], off
	global_store_dwordx4 v[46:47], v[42:45], off
	v_fma_f64 v[8:9], v[74:75], v[0:1], v[24:25]
	v_fma_f64 v[10:11], v[74:75], v[2:3], -v[40:41]
	v_mul_f64 v[0:1], v[20:21], s[0:1]
	v_mul_f64 v[2:3], v[22:23], s[0:1]
	v_fma_f64 v[20:21], v[56:57], v[26:27], v[52:53]
	v_fma_f64 v[22:23], v[56:57], v[28:29], -v[54:55]
	v_fma_f64 v[24:25], v[60:61], v[30:31], v[58:59]
	v_fma_f64 v[26:27], v[60:61], v[32:33], -v[62:63]
	;; [unrolled: 2-line block ×3, first 2 shown]
	v_add_co_u32 v38, vcc_lo, v46, s2
	v_add_co_ci_u32_e32 v39, vcc_lo, s3, v47, vcc_lo
	v_add_co_u32 v32, vcc_lo, v38, s2
	v_add_co_ci_u32_e32 v33, vcc_lo, s3, v39, vcc_lo
	v_fma_f64 v[12:13], v[76:77], v[12:13], v[48:49]
	v_fma_f64 v[14:15], v[76:77], v[14:15], -v[50:51]
	global_store_dwordx4 v[38:39], v[4:7], off
	v_mul_f64 v[8:9], v[8:9], s[0:1]
	v_mul_f64 v[10:11], v[10:11], s[0:1]
	global_store_dwordx4 v[32:33], v[0:3], off
	v_mul_f64 v[20:21], v[20:21], s[0:1]
	v_mul_f64 v[22:23], v[22:23], s[0:1]
	;; [unrolled: 1-line block ×8, first 2 shown]
	s_waitcnt vmcnt(0)
	v_mul_f64 v[34:35], v[80:81], v[18:19]
	v_mul_f64 v[36:37], v[80:81], v[16:17]
	v_fma_f64 v[16:17], v[78:79], v[16:17], v[34:35]
	v_fma_f64 v[18:19], v[78:79], v[18:19], -v[36:37]
	v_add_co_u32 v34, vcc_lo, v32, s2
	v_add_co_ci_u32_e32 v35, vcc_lo, s3, v33, vcc_lo
	v_add_co_u32 v36, vcc_lo, v34, s2
	v_add_co_ci_u32_e32 v37, vcc_lo, s3, v35, vcc_lo
	global_store_dwordx4 v[34:35], v[8:11], off
	v_add_co_u32 v40, vcc_lo, v36, s2
	v_add_co_ci_u32_e32 v41, vcc_lo, s3, v37, vcc_lo
	v_add_co_u32 v4, vcc_lo, v40, s2
	v_add_co_ci_u32_e32 v5, vcc_lo, s3, v41, vcc_lo
	v_mul_f64 v[16:17], v[16:17], s[0:1]
	v_mul_f64 v[18:19], v[18:19], s[0:1]
	v_add_co_u32 v0, vcc_lo, v4, s2
	v_add_co_ci_u32_e32 v1, vcc_lo, s3, v5, vcc_lo
	v_add_co_u32 v2, vcc_lo, v0, s2
	v_add_co_ci_u32_e32 v3, vcc_lo, s3, v1, vcc_lo
	global_store_dwordx4 v[36:37], v[12:15], off
	global_store_dwordx4 v[40:41], v[16:19], off
	;; [unrolled: 1-line block ×5, first 2 shown]
.LBB0_10:
	s_endpgm
	.section	.rodata,"a",@progbits
	.p2align	6, 0x0
	.amdhsa_kernel bluestein_single_back_len578_dim1_dp_op_CI_CI
		.amdhsa_group_segment_fixed_size 64736
		.amdhsa_private_segment_fixed_size 232
		.amdhsa_kernarg_size 104
		.amdhsa_user_sgpr_count 6
		.amdhsa_user_sgpr_private_segment_buffer 1
		.amdhsa_user_sgpr_dispatch_ptr 0
		.amdhsa_user_sgpr_queue_ptr 0
		.amdhsa_user_sgpr_kernarg_segment_ptr 1
		.amdhsa_user_sgpr_dispatch_id 0
		.amdhsa_user_sgpr_flat_scratch_init 0
		.amdhsa_user_sgpr_private_segment_size 0
		.amdhsa_wavefront_size32 1
		.amdhsa_uses_dynamic_stack 0
		.amdhsa_system_sgpr_private_segment_wavefront_offset 1
		.amdhsa_system_sgpr_workgroup_id_x 1
		.amdhsa_system_sgpr_workgroup_id_y 0
		.amdhsa_system_sgpr_workgroup_id_z 0
		.amdhsa_system_sgpr_workgroup_info 0
		.amdhsa_system_vgpr_workitem_id 0
		.amdhsa_next_free_vgpr 256
		.amdhsa_next_free_sgpr 68
		.amdhsa_reserve_vcc 1
		.amdhsa_reserve_flat_scratch 0
		.amdhsa_float_round_mode_32 0
		.amdhsa_float_round_mode_16_64 0
		.amdhsa_float_denorm_mode_32 3
		.amdhsa_float_denorm_mode_16_64 3
		.amdhsa_dx10_clamp 1
		.amdhsa_ieee_mode 1
		.amdhsa_fp16_overflow 0
		.amdhsa_workgroup_processor_mode 1
		.amdhsa_memory_ordered 1
		.amdhsa_forward_progress 0
		.amdhsa_shared_vgpr_count 0
		.amdhsa_exception_fp_ieee_invalid_op 0
		.amdhsa_exception_fp_denorm_src 0
		.amdhsa_exception_fp_ieee_div_zero 0
		.amdhsa_exception_fp_ieee_overflow 0
		.amdhsa_exception_fp_ieee_underflow 0
		.amdhsa_exception_fp_ieee_inexact 0
		.amdhsa_exception_int_div_zero 0
	.end_amdhsa_kernel
	.text
.Lfunc_end0:
	.size	bluestein_single_back_len578_dim1_dp_op_CI_CI, .Lfunc_end0-bluestein_single_back_len578_dim1_dp_op_CI_CI
                                        ; -- End function
	.section	.AMDGPU.csdata,"",@progbits
; Kernel info:
; codeLenInByte = 33084
; NumSgprs: 70
; NumVgprs: 256
; ScratchSize: 232
; MemoryBound: 0
; FloatMode: 240
; IeeeMode: 1
; LDSByteSize: 64736 bytes/workgroup (compile time only)
; SGPRBlocks: 8
; VGPRBlocks: 31
; NumSGPRsForWavesPerEU: 70
; NumVGPRsForWavesPerEU: 256
; Occupancy: 4
; WaveLimiterHint : 1
; COMPUTE_PGM_RSRC2:SCRATCH_EN: 1
; COMPUTE_PGM_RSRC2:USER_SGPR: 6
; COMPUTE_PGM_RSRC2:TRAP_HANDLER: 0
; COMPUTE_PGM_RSRC2:TGID_X_EN: 1
; COMPUTE_PGM_RSRC2:TGID_Y_EN: 0
; COMPUTE_PGM_RSRC2:TGID_Z_EN: 0
; COMPUTE_PGM_RSRC2:TIDIG_COMP_CNT: 0
	.text
	.p2alignl 6, 3214868480
	.fill 48, 4, 3214868480
	.type	__hip_cuid_b5b61455061961cd,@object ; @__hip_cuid_b5b61455061961cd
	.section	.bss,"aw",@nobits
	.globl	__hip_cuid_b5b61455061961cd
__hip_cuid_b5b61455061961cd:
	.byte	0                               ; 0x0
	.size	__hip_cuid_b5b61455061961cd, 1

	.ident	"AMD clang version 19.0.0git (https://github.com/RadeonOpenCompute/llvm-project roc-6.4.0 25133 c7fe45cf4b819c5991fe208aaa96edf142730f1d)"
	.section	".note.GNU-stack","",@progbits
	.addrsig
	.addrsig_sym __hip_cuid_b5b61455061961cd
	.amdgpu_metadata
---
amdhsa.kernels:
  - .args:
      - .actual_access:  read_only
        .address_space:  global
        .offset:         0
        .size:           8
        .value_kind:     global_buffer
      - .actual_access:  read_only
        .address_space:  global
        .offset:         8
        .size:           8
        .value_kind:     global_buffer
      - .actual_access:  read_only
        .address_space:  global
        .offset:         16
        .size:           8
        .value_kind:     global_buffer
      - .actual_access:  read_only
        .address_space:  global
        .offset:         24
        .size:           8
        .value_kind:     global_buffer
      - .actual_access:  read_only
        .address_space:  global
        .offset:         32
        .size:           8
        .value_kind:     global_buffer
      - .offset:         40
        .size:           8
        .value_kind:     by_value
      - .address_space:  global
        .offset:         48
        .size:           8
        .value_kind:     global_buffer
      - .address_space:  global
        .offset:         56
        .size:           8
        .value_kind:     global_buffer
      - .address_space:  global
        .offset:         64
        .size:           8
        .value_kind:     global_buffer
      - .address_space:  global
        .offset:         72
        .size:           8
        .value_kind:     global_buffer
      - .offset:         80
        .size:           4
        .value_kind:     by_value
      - .address_space:  global
        .offset:         88
        .size:           8
        .value_kind:     global_buffer
      - .address_space:  global
        .offset:         96
        .size:           8
        .value_kind:     global_buffer
    .group_segment_fixed_size: 64736
    .kernarg_segment_align: 8
    .kernarg_segment_size: 104
    .language:       OpenCL C
    .language_version:
      - 2
      - 0
    .max_flat_workgroup_size: 238
    .name:           bluestein_single_back_len578_dim1_dp_op_CI_CI
    .private_segment_fixed_size: 232
    .sgpr_count:     70
    .sgpr_spill_count: 0
    .symbol:         bluestein_single_back_len578_dim1_dp_op_CI_CI.kd
    .uniform_work_group_size: 1
    .uses_dynamic_stack: false
    .vgpr_count:     256
    .vgpr_spill_count: 57
    .wavefront_size: 32
    .workgroup_processor_mode: 1
amdhsa.target:   amdgcn-amd-amdhsa--gfx1030
amdhsa.version:
  - 1
  - 2
...

	.end_amdgpu_metadata
